;; amdgpu-corpus repo=ROCm/rocFFT kind=compiled arch=gfx1201 opt=O3
	.text
	.amdgcn_target "amdgcn-amd-amdhsa--gfx1201"
	.amdhsa_code_object_version 6
	.protected	bluestein_single_fwd_len1700_dim1_sp_op_CI_CI ; -- Begin function bluestein_single_fwd_len1700_dim1_sp_op_CI_CI
	.globl	bluestein_single_fwd_len1700_dim1_sp_op_CI_CI
	.p2align	8
	.type	bluestein_single_fwd_len1700_dim1_sp_op_CI_CI,@function
bluestein_single_fwd_len1700_dim1_sp_op_CI_CI: ; @bluestein_single_fwd_len1700_dim1_sp_op_CI_CI
; %bb.0:
	s_load_b128 s[8:11], s[0:1], 0x28
	v_mul_u32_u24_e32 v1, 0x182, v0
	s_mov_b32 s2, exec_lo
	v_mov_b32_e32 v65, 0
	s_delay_alu instid0(VALU_DEP_2) | instskip(NEXT) | instid1(VALU_DEP_1)
	v_lshrrev_b32_e32 v1, 16, v1
	v_add_nc_u32_e32 v64, ttmp9, v1
	s_wait_kmcnt 0x0
	s_delay_alu instid0(VALU_DEP_1)
	v_cmpx_gt_u64_e64 s[8:9], v[64:65]
	s_cbranch_execz .LBB0_15
; %bb.1:
	s_clause 0x1
	s_load_b64 s[8:9], s[0:1], 0x0
	s_load_b64 s[12:13], s[0:1], 0x38
	v_mul_lo_u16 v1, 0xaa, v1
	s_delay_alu instid0(VALU_DEP_1) | instskip(NEXT) | instid1(VALU_DEP_1)
	v_sub_nc_u16 v0, v0, v1
	v_and_b32_e32 v86, 0xffff, v0
	v_cmp_gt_u16_e32 vcc_lo, 0x64, v0
	s_delay_alu instid0(VALU_DEP_2)
	v_lshlrev_b32_e32 v85, 3, v86
	s_and_saveexec_b32 s3, vcc_lo
	s_cbranch_execz .LBB0_3
; %bb.2:
	s_load_b64 s[4:5], s[0:1], 0x18
	s_delay_alu instid0(VALU_DEP_1)
	v_add_nc_u32_e32 v72, 0x800, v85
	v_add_nc_u32_e32 v74, 0x1800, v85
	s_wait_kmcnt 0x0
	s_load_b128 s[4:7], s[4:5], 0x0
	s_wait_kmcnt 0x0
	v_mad_co_u64_u32 v[0:1], null, s6, v64, 0
	v_mad_co_u64_u32 v[2:3], null, s4, v86, 0
	s_delay_alu instid0(VALU_DEP_1) | instskip(NEXT) | instid1(VALU_DEP_1)
	v_mad_co_u64_u32 v[4:5], null, s7, v64, v[1:2]
	v_mad_co_u64_u32 v[5:6], null, s5, v86, v[3:4]
	v_mov_b32_e32 v1, v4
	s_mul_u64 s[4:5], s[4:5], 0x320
	s_delay_alu instid0(VALU_DEP_1) | instskip(NEXT) | instid1(VALU_DEP_3)
	v_lshlrev_b64_e32 v[0:1], 3, v[0:1]
	v_mov_b32_e32 v3, v5
	s_delay_alu instid0(VALU_DEP_2) | instskip(NEXT) | instid1(VALU_DEP_2)
	v_add_co_u32 v10, s2, s10, v0
	v_lshlrev_b64_e32 v[2:3], 3, v[2:3]
	s_delay_alu instid0(VALU_DEP_4)
	v_add_co_ci_u32_e64 v11, s2, s11, v1, s2
	s_clause 0xb
	global_load_b64 v[0:1], v85, s[8:9]
	global_load_b64 v[4:5], v85, s[8:9] offset:800
	global_load_b64 v[6:7], v85, s[8:9] offset:1600
	;; [unrolled: 1-line block ×11, first 2 shown]
	v_add_co_u32 v2, s2, v10, v2
	s_wait_alu 0xf1ff
	v_add_co_ci_u32_e64 v3, s2, v11, v3, s2
	s_clause 0x2
	global_load_b64 v[32:33], v85, s[8:9] offset:9600
	global_load_b64 v[34:35], v85, s[8:9] offset:10400
	;; [unrolled: 1-line block ×3, first 2 shown]
	s_wait_alu 0xfffe
	v_add_co_u32 v10, s2, v2, s4
	s_wait_alu 0xf1ff
	v_add_co_ci_u32_e64 v11, s2, s5, v3, s2
	s_delay_alu instid0(VALU_DEP_2) | instskip(SKIP_1) | instid1(VALU_DEP_2)
	v_add_co_u32 v20, s2, v10, s4
	s_wait_alu 0xf1ff
	v_add_co_ci_u32_e64 v21, s2, s5, v11, s2
	s_delay_alu instid0(VALU_DEP_2) | instskip(SKIP_1) | instid1(VALU_DEP_2)
	;; [unrolled: 4-line block ×3, first 2 shown]
	v_add_co_u32 v38, s2, v30, s4
	s_wait_alu 0xf1ff
	v_add_co_ci_u32_e64 v39, s2, s5, v31, s2
	s_clause 0x3
	global_load_b64 v[2:3], v[2:3], off
	global_load_b64 v[10:11], v[10:11], off
	;; [unrolled: 1-line block ×4, first 2 shown]
	v_add_co_u32 v40, s2, v38, s4
	s_wait_alu 0xf1ff
	v_add_co_ci_u32_e64 v41, s2, s5, v39, s2
	global_load_b64 v[38:39], v[38:39], off
	v_add_co_u32 v42, s2, v40, s4
	s_wait_alu 0xf1ff
	v_add_co_ci_u32_e64 v43, s2, s5, v41, s2
	global_load_b64 v[40:41], v[40:41], off
	;; [unrolled: 4-line block ×11, first 2 shown]
	v_add_co_u32 v62, s2, v60, s4
	s_wait_alu 0xf1ff
	v_add_co_ci_u32_e64 v63, s2, s5, v61, s2
	global_load_b64 v[65:66], v85, s[8:9] offset:12000
	global_load_b64 v[60:61], v[60:61], off
	global_load_b64 v[67:68], v85, s[8:9] offset:12800
	global_load_b64 v[62:63], v[62:63], off
	v_add_nc_u32_e32 v71, 0x400, v85
	s_wait_loadcnt 0x12
	v_mul_f32_e32 v69, v3, v1
	v_mul_f32_e32 v70, v2, v1
	v_add_nc_u32_e32 v76, 0x2400, v85
	s_wait_loadcnt 0x11
	v_mul_f32_e32 v1, v11, v5
	v_fmac_f32_e32 v69, v2, v0
	v_fma_f32 v70, v3, v0, -v70
	s_wait_loadcnt 0x10
	v_dual_mul_f32 v0, v10, v5 :: v_dual_mul_f32 v3, v21, v7
	v_mul_f32_e32 v7, v20, v7
	s_wait_loadcnt 0xf
	v_mul_f32_e32 v5, v31, v9
	v_mul_f32_e32 v9, v30, v9
	v_fmac_f32_e32 v1, v10, v4
	v_fma_f32 v2, v11, v4, -v0
	s_wait_loadcnt 0xe
	v_dual_mul_f32 v0, v39, v13 :: v_dual_fmac_f32 v3, v20, v6
	v_fma_f32 v4, v21, v6, -v7
	v_fmac_f32_e32 v5, v30, v8
	v_fma_f32 v6, v31, v8, -v9
	v_mul_f32_e32 v7, v38, v13
	ds_store_2addr_b64 v85, v[69:70], v[1:2] offset1:100
	s_wait_loadcnt 0xd
	v_dual_mul_f32 v2, v41, v15 :: v_dual_add_nc_u32 v73, 0x1000, v85
	v_fmac_f32_e32 v0, v38, v12
	ds_store_2addr_b64 v71, v[3:4], v[5:6] offset0:72 offset1:172
	v_fma_f32 v1, v39, v12, -v7
	s_wait_loadcnt 0xc
	v_mul_f32_e32 v4, v43, v17
	s_wait_loadcnt 0xb
	v_dual_mul_f32 v5, v42, v17 :: v_dual_mul_f32 v6, v45, v19
	v_mul_f32_e32 v7, v44, v19
	v_add_nc_u32_e32 v77, 0x2800, v85
	v_dual_mul_f32 v3, v40, v15 :: v_dual_fmac_f32 v4, v42, v16
	s_delay_alu instid0(VALU_DEP_4)
	v_fma_f32 v5, v43, v16, -v5
	v_fmac_f32_e32 v6, v44, v18
	v_fma_f32 v7, v45, v18, -v7
	v_dual_fmac_f32 v2, v40, v14 :: v_dual_add_nc_u32 v75, 0x1c00, v85
	s_wait_loadcnt 0xa
	v_mul_f32_e32 v8, v47, v23
	ds_store_2addr_b64 v73, v[4:5], v[6:7] offset0:88 offset1:188
	s_wait_loadcnt 0x7
	v_mul_f32_e32 v4, v53, v29
	v_fma_f32 v3, v41, v14, -v3
	v_mul_f32_e32 v9, v46, v23
	v_fmac_f32_e32 v8, v46, v22
	s_delay_alu instid0(VALU_DEP_4)
	v_fmac_f32_e32 v4, v52, v28
	ds_store_2addr_b64 v72, v[0:1], v[2:3] offset0:144 offset1:244
	v_mul_f32_e32 v0, v49, v25
	v_dual_mul_f32 v1, v48, v25 :: v_dual_mul_f32 v2, v51, v27
	s_wait_loadcnt 0x5
	v_mul_f32_e32 v10, v57, v35
	v_mul_f32_e32 v11, v56, v35
	v_dual_mul_f32 v3, v50, v27 :: v_dual_mul_f32 v6, v55, v33
	v_mul_f32_e32 v5, v52, v29
	s_wait_loadcnt 0x4
	v_mul_f32_e32 v12, v59, v37
	v_dual_mul_f32 v7, v54, v33 :: v_dual_fmac_f32 v10, v56, v34
	s_wait_loadcnt 0x2
	v_dual_mul_f32 v13, v58, v37 :: v_dual_mul_f32 v14, v61, v66
	s_delay_alu instid0(VALU_DEP_3) | instskip(SKIP_2) | instid1(VALU_DEP_3)
	v_dual_fmac_f32 v12, v58, v36 :: v_dual_mul_f32 v15, v60, v66
	s_wait_loadcnt 0x0
	v_mul_f32_e32 v16, v63, v68
	v_dual_mul_f32 v17, v62, v68 :: v_dual_fmac_f32 v14, v60, v65
	v_fma_f32 v9, v47, v22, -v9
	v_fmac_f32_e32 v0, v48, v24
	v_fma_f32 v1, v49, v24, -v1
	v_fmac_f32_e32 v2, v50, v26
	;; [unrolled: 2-line block ×3, first 2 shown]
	v_fma_f32 v5, v53, v28, -v5
	v_fma_f32 v7, v55, v32, -v7
	;; [unrolled: 1-line block ×5, first 2 shown]
	v_fmac_f32_e32 v16, v62, v67
	v_fma_f32 v17, v63, v67, -v17
	ds_store_2addr_b64 v74, v[8:9], v[0:1] offset0:32 offset1:132
	ds_store_2addr_b64 v75, v[2:3], v[4:5] offset0:104 offset1:204
	;; [unrolled: 1-line block ×4, first 2 shown]
	ds_store_b64 v85, v[16:17] offset:12800
.LBB0_3:
	s_or_b32 exec_lo, exec_lo, s3
	s_load_b64 s[2:3], s[0:1], 0x20
	v_mov_b32_e32 v12, 0
	v_mov_b32_e32 v13, 0
	global_wb scope:SCOPE_SE
	s_wait_dscnt 0x0
	s_wait_kmcnt 0x0
	s_barrier_signal -1
	s_barrier_wait -1
	global_inv scope:SCOPE_SE
                                        ; implicit-def: $vgpr30
                                        ; implicit-def: $vgpr24
                                        ; implicit-def: $vgpr20
                                        ; implicit-def: $vgpr16
                                        ; implicit-def: $vgpr44
                                        ; implicit-def: $vgpr42
                                        ; implicit-def: $vgpr34
                                        ; implicit-def: $vgpr38
	s_and_saveexec_b32 s4, vcc_lo
	s_cbranch_execz .LBB0_5
; %bb.4:
	v_add_nc_u32_e32 v0, 0x400, v85
	v_add_nc_u32_e32 v1, 0x800, v85
	;; [unrolled: 1-line block ×3, first 2 shown]
	ds_load_2addr_b64 v[12:15], v85 offset1:100
	v_add_nc_u32_e32 v3, 0x2400, v85
	ds_load_2addr_b64 v[36:39], v0 offset0:72 offset1:172
	ds_load_2addr_b64 v[32:35], v1 offset0:144 offset1:244
	v_add_nc_u32_e32 v0, 0x1800, v85
	v_add_nc_u32_e32 v1, 0x1c00, v85
	;; [unrolled: 1-line block ×3, first 2 shown]
	ds_load_2addr_b64 v[40:43], v2 offset0:88 offset1:188
	ds_load_2addr_b64 v[28:31], v0 offset0:32 offset1:132
	;; [unrolled: 1-line block ×5, first 2 shown]
	ds_load_b64 v[44:45], v85 offset:12800
.LBB0_5:
	s_wait_alu 0xfffe
	s_or_b32 exec_lo, exec_lo, s4
	s_wait_dscnt 0x0
	v_dual_sub_f32 v46, v15, v45 :: v_dual_sub_f32 v47, v14, v44
	v_dual_add_f32 v48, v44, v14 :: v_dual_add_f32 v49, v45, v15
	v_dual_add_f32 v50, v18, v36 :: v_dual_sub_f32 v103, v36, v18
	s_delay_alu instid0(VALU_DEP_3) | instskip(SKIP_1) | instid1(VALU_DEP_3)
	v_dual_mul_f32 v54, 0xbeb8f4ab, v46 :: v_dual_mul_f32 v55, 0xbeb8f4ab, v47
	v_dual_sub_f32 v102, v37, v19 :: v_dual_add_f32 v51, v19, v37
	v_mul_f32_e32 v59, 0xbf2c7751, v103
	v_dual_mul_f32 v72, 0xbf2c7751, v47 :: v_dual_sub_f32 v113, v38, v16
	s_delay_alu instid0(VALU_DEP_4) | instskip(NEXT) | instid1(VALU_DEP_4)
	v_fma_f32 v1, 0x3f6eb680, v49, -v55
	v_mul_f32_e32 v56, 0xbf2c7751, v102
	v_fmamk_f32 v0, v48, 0x3f6eb680, v54
	v_dual_sub_f32 v112, v39, v17 :: v_dual_add_f32 v53, v17, v39
	s_delay_alu instid0(VALU_DEP_4)
	v_add_f32_e32 v1, v1, v13
	v_fma_f32 v3, 0x3f3d2fb0, v51, -v59
	v_dual_add_f32 v52, v16, v38 :: v_dual_mul_f32 v61, 0xbf65296c, v113
	v_dual_sub_f32 v142, v43, v25 :: v_dual_mul_f32 v97, 0xbf7ee86f, v103
	v_sub_f32_e32 v132, v41, v27
	v_dual_add_f32 v0, v0, v12 :: v_dual_mul_f32 v69, 0xbf2c7751, v46
	v_dual_fmamk_f32 v2, v50, 0x3f3d2fb0, v56 :: v_dual_add_f32 v1, v3, v1
	v_fma_f32 v3, 0x3ee437d1, v53, -v61
	v_mul_f32_e32 v60, 0xbf65296c, v112
	v_dual_mul_f32 v81, 0xbf06c442, v142 :: v_dual_sub_f32 v124, v35, v21
	v_dual_mul_f32 v77, 0xbf4c4adb, v132 :: v_dual_sub_f32 v116, v32, v22
	v_dual_sub_f32 v114, v33, v23 :: v_dual_sub_f32 v125, v34, v20
	v_add_f32_e32 v0, v2, v0
	v_dual_add_f32 v58, v23, v33 :: v_dual_add_f32 v63, v21, v35
	v_dual_add_f32 v1, v3, v1 :: v_dual_fmamk_f32 v2, v52, 0x3ee437d1, v60
	v_add_f32_e32 v57, v22, v32
	v_mul_f32_e32 v73, 0xbf763a35, v124
	v_dual_mul_f32 v68, 0xbf7ee86f, v116 :: v_dual_mul_f32 v67, 0xbf7ee86f, v114
	s_delay_alu instid0(VALU_DEP_4) | instskip(SKIP_1) | instid1(VALU_DEP_3)
	v_dual_add_f32 v0, v2, v0 :: v_dual_sub_f32 v135, v40, v26
	v_dual_mul_f32 v74, 0xbf763a35, v125 :: v_dual_sub_f32 v145, v42, v24
	v_fma_f32 v3, 0x3dbcf732, v58, -v68
	s_delay_alu instid0(VALU_DEP_4) | instskip(NEXT) | instid1(VALU_DEP_4)
	v_dual_fmamk_f32 v2, v57, 0x3dbcf732, v67 :: v_dual_add_f32 v71, v27, v41
	v_dual_mul_f32 v78, 0xbf4c4adb, v135 :: v_dual_add_f32 v79, v30, v28
	s_delay_alu instid0(VALU_DEP_3) | instskip(SKIP_4) | instid1(VALU_DEP_4)
	v_add_f32_e32 v1, v3, v1
	v_fma_f32 v3, 0xbe8c1d8e, v63, -v74
	v_add_f32_e32 v62, v20, v34
	v_dual_add_f32 v0, v2, v0 :: v_dual_add_f32 v75, v24, v42
	v_dual_add_f32 v70, v26, v40 :: v_dual_sub_f32 v147, v28, v30
	v_add_f32_e32 v1, v3, v1
	v_fma_f32 v3, 0xbf1a4643, v71, -v78
	v_fmamk_f32 v2, v62, 0xbe8c1d8e, v73
	v_add_f32_e32 v76, v25, v43
	v_mul_f32_e32 v82, 0xbf06c442, v145
	s_delay_alu instid0(VALU_DEP_4) | instskip(SKIP_2) | instid1(VALU_DEP_4)
	v_dual_mul_f32 v150, 0xbf65296c, v114 :: v_dual_add_f32 v1, v3, v1
	v_dual_sub_f32 v146, v29, v31 :: v_dual_mul_f32 v93, 0x3f763a35, v132
	v_add_f32_e32 v0, v2, v0
	v_fma_f32 v3, 0xbf59a7d5, v76, -v82
	v_fmamk_f32 v2, v70, 0xbf1a4643, v77
	v_fmamk_f32 v10, v57, 0x3ee437d1, v150
	v_mul_f32_e32 v104, 0xbf4c4adb, v102
	v_mul_f32_e32 v83, 0xbe3c28d5, v146
	s_delay_alu instid0(VALU_DEP_4)
	v_dual_add_f32 v1, v3, v1 :: v_dual_add_f32 v0, v2, v0
	v_mul_f32_e32 v91, 0xbe3c28d5, v114
	v_mul_f32_e32 v133, 0x3f4c4adb, v142
	v_fmamk_f32 v6, v50, 0xbf1a4643, v104
	v_fmamk_f32 v2, v75, 0xbf59a7d5, v81
	v_fma_f32 v5, 0x3f3d2fb0, v49, -v72
	v_mul_f32_e32 v94, 0xbf4c4adb, v113
	v_mul_f32_e32 v95, 0x3f65296c, v142
	;; [unrolled: 1-line block ×3, first 2 shown]
	v_add_f32_e32 v0, v2, v0
	v_fmamk_f32 v2, v79, 0xbf7ba420, v83
	v_mul_f32_e32 v111, 0xbf65296c, v46
	v_mul_f32_e32 v98, 0x3f06c442, v125
	v_dual_add_f32 v80, v31, v29 :: v_dual_mul_f32 v99, 0x3f763a35, v135
	s_delay_alu instid0(VALU_DEP_4) | instskip(SKIP_4) | instid1(VALU_DEP_4)
	v_dual_add_f32 v65, v2, v0 :: v_dual_add_f32 v2, v5, v13
	v_fma_f32 v5, 0x3dbcf732, v51, -v97
	v_mul_f32_e32 v84, 0xbe3c28d5, v147
	v_mul_f32_e32 v105, 0x3e3c28d5, v112
	;; [unrolled: 1-line block ×3, first 2 shown]
	v_dual_mul_f32 v107, 0x3f2c7751, v124 :: v_dual_add_f32 v2, v5, v2
	v_fma_f32 v5, 0xbf1a4643, v53, -v94
	v_fma_f32 v3, 0xbf7ba420, v80, -v84
	v_mul_f32_e32 v108, 0xbeb8f4ab, v132
	v_mul_f32_e32 v88, 0xbf7ee86f, v102
	;; [unrolled: 1-line block ×3, first 2 shown]
	v_add_f32_e32 v2, v5, v2
	v_fma_f32 v5, 0xbf7ba420, v58, -v96
	v_add_f32_e32 v66, v3, v1
	v_fmamk_f32 v0, v50, 0x3dbcf732, v88
	v_mul_f32_e32 v89, 0x3eb8f4ab, v146
	v_mul_f32_e32 v92, 0x3f06c442, v124
	v_add_f32_e32 v2, v5, v2
	v_fma_f32 v5, 0xbf59a7d5, v63, -v98
	v_mul_f32_e32 v101, 0x3eb8f4ab, v147
	v_dual_mul_f32 v126, 0xbe3c28d5, v102 :: v_dual_mul_f32 v155, 0xbe3c28d5, v124
	s_delay_alu instid0(VALU_DEP_3) | instskip(SKIP_3) | instid1(VALU_DEP_3)
	v_dual_mul_f32 v117, 0xbf65296c, v47 :: v_dual_add_f32 v2, v5, v2
	v_fma_f32 v5, 0xbe8c1d8e, v71, -v99
	v_dual_mul_f32 v106, 0x3f763a35, v114 :: v_dual_mul_f32 v127, 0x3f763a35, v112
	v_mul_f32_e32 v119, 0x3e3c28d5, v113
	v_dual_mul_f32 v130, 0xbf65296c, v124 :: v_dual_add_f32 v1, v5, v2
	v_fma_f32 v2, 0x3ee437d1, v76, -v100
	v_fmamk_f32 v3, v79, 0x3f6eb680, v89
	v_dual_mul_f32 v121, 0x3f2c7751, v125 :: v_dual_mul_f32 v138, 0x3f2c7751, v147
	v_dual_mul_f32 v120, 0x3f763a35, v116 :: v_dual_mul_f32 v141, 0x3f763a35, v113
	s_delay_alu instid0(VALU_DEP_4) | instskip(SKIP_1) | instid1(VALU_DEP_4)
	v_dual_add_f32 v1, v2, v1 :: v_dual_fmamk_f32 v2, v48, 0x3ee437d1, v111
	v_fmamk_f32 v4, v48, 0x3f3d2fb0, v69
	v_fma_f32 v9, 0x3f3d2fb0, v80, -v138
	v_mul_f32_e32 v118, 0xbf4c4adb, v103
	v_mul_f32_e32 v109, 0xbf7ee86f, v142
	v_add_f32_e32 v5, v2, v12
	v_add_f32_e32 v4, v4, v12
	v_dual_mul_f32 v110, 0xbf06c442, v146 :: v_dual_mul_f32 v115, 0xbf06c442, v147
	v_dual_mul_f32 v122, 0xbeb8f4ab, v135 :: v_dual_mul_f32 v149, 0xbeb8f4ab, v142
	s_delay_alu instid0(VALU_DEP_3) | instskip(SKIP_4) | instid1(VALU_DEP_4)
	v_add_f32_e32 v0, v0, v4
	v_fmamk_f32 v4, v52, 0xbf1a4643, v90
	v_mul_f32_e32 v140, 0xbe3c28d5, v103
	v_dual_mul_f32 v144, 0xbf65296c, v125 :: v_dual_mul_f32 v165, 0xbf65296c, v116
	v_mul_f32_e32 v128, 0x3eb8f4ab, v114
	v_add_f32_e32 v0, v4, v0
	v_fmamk_f32 v4, v57, 0xbf7ba420, v91
	v_mul_f32_e32 v123, 0xbf7ee86f, v145
	v_fma_f32 v8, 0xbf7ba420, v51, -v140
	v_mul_f32_e32 v152, 0x3f2c7751, v112
	v_mul_f32_e32 v136, 0xbf06c442, v135
	v_add_f32_e32 v0, v4, v0
	v_fmamk_f32 v4, v62, 0xbf59a7d5, v92
	v_fmamk_f32 v7, v79, 0xbf59a7d5, v110
	v_mul_f32_e32 v201, 0xbf763a35, v147
	v_mul_f32_e32 v154, 0x3f06c442, v102
	s_delay_alu instid0(VALU_DEP_4)
	v_dual_mul_f32 v129, 0xbf7ee86f, v46 :: v_dual_add_f32 v0, v4, v0
	v_fmamk_f32 v4, v70, 0xbe8c1d8e, v93
	v_mul_f32_e32 v170, 0xbeb8f4ab, v145
	v_fma_f32 v162, 0xbe8c1d8e, v80, -v201
	v_mul_f32_e32 v139, 0xbf7ee86f, v47
	v_mul_f32_e32 v176, 0x3f763a35, v102
	v_add_f32_e32 v0, v4, v0
	v_fmamk_f32 v4, v75, 0x3ee437d1, v95
	v_mul_f32_e32 v134, 0x3f2c7751, v146
	v_fma_f32 v87, 0x3f6eb680, v76, -v170
	v_dual_mul_f32 v166, 0xbf763a35, v47 :: v_dual_mul_f32 v195, 0xbf763a35, v146
	s_delay_alu instid0(VALU_DEP_4)
	v_add_f32_e32 v0, v4, v0
	v_fma_f32 v4, 0x3f6eb680, v80, -v101
	v_mul_f32_e32 v143, 0x3eb8f4ab, v116
	v_mul_f32_e32 v168, 0x3f06c442, v103
	;; [unrolled: 1-line block ×3, first 2 shown]
	v_dual_add_f32 v2, v3, v0 :: v_dual_add_f32 v3, v6, v5
	v_fmamk_f32 v5, v52, 0xbf7ba420, v105
	v_fma_f32 v0, 0x3ee437d1, v49, -v117
	v_fma_f32 v6, 0xbf1a4643, v51, -v118
	v_mul_f32_e32 v131, 0xbf06c442, v132
	v_dual_mul_f32 v148, 0xbf4c4adb, v146 :: v_dual_mul_f32 v169, 0xbf4c4adb, v147
	v_add_f32_e32 v3, v5, v3
	v_dual_fmamk_f32 v5, v57, 0xbe8c1d8e, v106 :: v_dual_add_f32 v0, v0, v13
	v_mul_f32_e32 v137, 0x3f4c4adb, v145
	v_mul_f32_e32 v153, 0x3f7ee86f, v132
	v_dual_mul_f32 v164, 0xbe3c28d5, v125 :: v_dual_mul_f32 v191, 0xbe3c28d5, v132
	s_delay_alu instid0(VALU_DEP_4) | instskip(SKIP_4) | instid1(VALU_DEP_4)
	v_add_f32_e32 v3, v5, v3
	v_fmamk_f32 v5, v62, 0x3f3d2fb0, v107
	v_fmamk_f32 v11, v75, 0x3f6eb680, v149
	v_mul_f32_e32 v188, 0x3f65296c, v147
	v_dual_mul_f32 v186, 0xbeb8f4ab, v113 :: v_dual_mul_f32 v193, 0xbeb8f4ab, v124
	v_add_f32_e32 v3, v5, v3
	v_fmamk_f32 v5, v70, 0x3f6eb680, v108
	s_delay_alu instid0(VALU_DEP_4)
	v_fma_f32 v160, 0x3ee437d1, v80, -v188
	v_mul_f32_e32 v190, 0x3f65296c, v102
	v_mul_f32_e32 v180, 0x3f7ee86f, v125
	;; [unrolled: 1-line block ×3, first 2 shown]
	v_add_f32_e32 v3, v5, v3
	v_dual_fmamk_f32 v5, v75, 0x3dbcf732, v109 :: v_dual_add_f32 v0, v6, v0
	v_fma_f32 v6, 0xbf7ba420, v53, -v119
	v_dual_mul_f32 v178, 0xbeb8f4ab, v112 :: v_dual_mul_f32 v199, 0xbeb8f4ab, v125
	s_delay_alu instid0(VALU_DEP_3) | instskip(NEXT) | instid1(VALU_DEP_3)
	v_add_f32_e32 v5, v5, v3
	v_dual_add_f32 v3, v4, v1 :: v_dual_add_f32 v0, v6, v0
	v_fma_f32 v6, 0xbe8c1d8e, v58, -v120
	v_fma_f32 v4, 0x3dbcf732, v76, -v123
	v_mul_f32_e32 v151, 0xbf763a35, v46
	v_mul_f32_e32 v184, 0xbe3c28d5, v145
	;; [unrolled: 1-line block ×3, first 2 shown]
	v_add_f32_e32 v0, v6, v0
	v_fma_f32 v6, 0x3f3d2fb0, v63, -v121
	v_mul_f32_e32 v167, 0x3f2c7751, v113
	v_mul_f32_e32 v194, 0x3f4c4adb, v114
	;; [unrolled: 1-line block ×4, first 2 shown]
	v_add_f32_e32 v0, v6, v0
	v_fma_f32 v6, 0x3f6eb680, v71, -v122
	v_mul_f32_e32 v204, 0x3f65296c, v103
	v_mul_f32_e32 v200, 0x3f4c4adb, v116
	;; [unrolled: 1-line block ×4, first 2 shown]
	v_add_f32_e32 v1, v6, v0
	v_fma_f32 v6, 0x3dbcf732, v49, -v139
	v_dual_add_f32 v0, v7, v5 :: v_dual_fmamk_f32 v7, v50, 0xbf7ba420, v126
	v_fma_f32 v5, 0xbf59a7d5, v80, -v115
	s_delay_alu instid0(VALU_DEP_4) | instskip(NEXT) | instid1(VALU_DEP_4)
	v_add_f32_e32 v1, v4, v1
	v_add_f32_e32 v6, v6, v13
	v_fmamk_f32 v4, v48, 0x3dbcf732, v129
	v_mul_f32_e32 v173, 0xbf4c4adb, v46
	v_mul_f32_e32 v181, 0xbf4c4adb, v47
	s_delay_alu instid0(VALU_DEP_4) | instskip(SKIP_4) | instid1(VALU_DEP_4)
	v_dual_add_f32 v1, v5, v1 :: v_dual_add_f32 v6, v8, v6
	v_fma_f32 v8, 0xbe8c1d8e, v53, -v141
	v_dual_add_f32 v4, v4, v12 :: v_dual_fmamk_f32 v5, v70, 0xbf59a7d5, v131
	v_mul_f32_e32 v183, 0x3f763a35, v103
	v_fma_f32 v157, 0x3ee437d1, v51, -v204
	v_add_f32_e32 v6, v8, v6
	v_fma_f32 v8, 0x3f6eb680, v58, -v143
	v_dual_add_f32 v4, v7, v4 :: v_dual_fmamk_f32 v7, v52, 0xbe8c1d8e, v127
	s_load_b64 s[4:5], s[0:1], 0x8
	global_wb scope:SCOPE_SE
	v_add_f32_e32 v6, v8, v6
	v_fma_f32 v8, 0x3ee437d1, v63, -v144
	v_dual_add_f32 v4, v7, v4 :: v_dual_fmamk_f32 v7, v57, 0x3f6eb680, v128
	v_mul_f32_e32 v179, 0xbf06c442, v114
	v_mul_f32_e32 v177, 0xbe3c28d5, v142
	s_delay_alu instid0(VALU_DEP_4)
	v_add_f32_e32 v6, v8, v6
	v_fmamk_f32 v8, v48, 0xbe8c1d8e, v151
	v_dual_add_f32 v4, v7, v4 :: v_dual_fmamk_f32 v7, v62, 0x3ee437d1, v130
	s_wait_kmcnt 0x0
	s_barrier_signal -1
	v_mul_f32_e32 v187, 0xbf06c442, v116
	s_barrier_wait -1
	global_inv scope:SCOPE_SE
	v_add_f32_e32 v4, v7, v4
	v_mul_f32_e32 v175, 0xbf2c7751, v132
	v_mul_f32_e32 v189, 0xbf06c442, v46
	v_mul_f32_e32 v185, 0x3f65296c, v146
	s_delay_alu instid0(VALU_DEP_4)
	v_dual_mul_f32 v203, 0xbf7ee86f, v113 :: v_dual_add_f32 v4, v5, v4
	v_fma_f32 v5, 0xbf59a7d5, v71, -v136
	v_fmamk_f32 v7, v75, 0xbf1a4643, v133
	v_fmamk_f32 v156, v48, 0xbf59a7d5, v189
	;; [unrolled: 1-line block ×3, first 2 shown]
	v_mul_f32_e32 v197, 0x3f2c7751, v145
	v_add_f32_e32 v5, v5, v6
	v_fma_f32 v6, 0xbf1a4643, v76, -v137
	v_add_f32_e32 v4, v7, v4
	v_dual_add_f32 v7, v8, v12 :: v_dual_fmamk_f32 v8, v50, 0xbf59a7d5, v154
	v_fmamk_f32 v161, v79, 0xbe8c1d8e, v195
	s_delay_alu instid0(VALU_DEP_2) | instskip(SKIP_2) | instid1(VALU_DEP_1)
	v_dual_add_f32 v5, v6, v5 :: v_dual_add_f32 v6, v8, v7
	v_fmamk_f32 v7, v52, 0x3f3d2fb0, v152
	v_fmamk_f32 v8, v79, 0x3f3d2fb0, v134
	v_dual_add_f32 v7, v7, v6 :: v_dual_add_f32 v6, v8, v4
	v_fma_f32 v4, 0xbe8c1d8e, v49, -v166
	v_fmamk_f32 v8, v62, 0xbf7ba420, v155
	s_delay_alu instid0(VALU_DEP_3) | instskip(SKIP_1) | instid1(VALU_DEP_4)
	v_add_f32_e32 v7, v10, v7
	v_fma_f32 v10, 0xbf59a7d5, v51, -v168
	v_add_f32_e32 v4, v4, v13
	s_delay_alu instid0(VALU_DEP_3) | instskip(NEXT) | instid1(VALU_DEP_2)
	v_dual_add_f32 v7, v8, v7 :: v_dual_fmamk_f32 v8, v70, 0x3dbcf732, v153
	v_add_f32_e32 v4, v10, v4
	v_fma_f32 v10, 0x3f3d2fb0, v53, -v167
	s_delay_alu instid0(VALU_DEP_3) | instskip(NEXT) | instid1(VALU_DEP_2)
	v_dual_add_f32 v8, v8, v7 :: v_dual_add_f32 v7, v9, v5
	v_add_f32_e32 v4, v10, v4
	v_fma_f32 v10, 0x3ee437d1, v58, -v165
	s_delay_alu instid0(VALU_DEP_3) | instskip(SKIP_2) | instid1(VALU_DEP_4)
	v_add_f32_e32 v5, v11, v8
	v_fmamk_f32 v8, v79, 0xbf1a4643, v148
	v_fma_f32 v11, 0xbe8c1d8e, v51, -v183
	v_add_f32_e32 v9, v10, v4
	v_fma_f32 v10, 0xbf7ba420, v63, -v164
	s_delay_alu instid0(VALU_DEP_4) | instskip(SKIP_1) | instid1(VALU_DEP_3)
	v_add_f32_e32 v4, v8, v5
	v_fma_f32 v8, 0x3dbcf732, v71, -v159
	v_add_f32_e32 v5, v10, v9
	v_fmamk_f32 v9, v48, 0xbf1a4643, v173
	v_fma_f32 v10, 0xbf1a4643, v49, -v181
	s_delay_alu instid0(VALU_DEP_2) | instskip(SKIP_1) | instid1(VALU_DEP_3)
	v_dual_add_f32 v5, v8, v5 :: v_dual_add_f32 v8, v9, v12
	v_fmamk_f32 v9, v50, 0xbe8c1d8e, v176
	v_add_f32_e32 v10, v10, v13
	s_delay_alu instid0(VALU_DEP_3) | instskip(SKIP_1) | instid1(VALU_DEP_3)
	v_add_f32_e32 v5, v87, v5
	v_fma_f32 v87, 0xbf1a4643, v80, -v169
	v_dual_add_f32 v8, v9, v8 :: v_dual_add_f32 v9, v11, v10
	v_fma_f32 v11, 0x3f6eb680, v53, -v186
	s_delay_alu instid0(VALU_DEP_3) | instskip(SKIP_1) | instid1(VALU_DEP_3)
	v_dual_fmamk_f32 v10, v52, 0x3f6eb680, v178 :: v_dual_add_f32 v5, v87, v5
	v_mul_lo_u16 v87, v86, 17
	v_add_f32_e32 v9, v11, v9
	v_fma_f32 v11, 0xbf59a7d5, v58, -v187
	s_delay_alu instid0(VALU_DEP_1) | instskip(SKIP_1) | instid1(VALU_DEP_1)
	v_add_f32_e32 v9, v11, v9
	v_fma_f32 v11, 0x3dbcf732, v63, -v180
	v_add_f32_e32 v9, v11, v9
	v_fma_f32 v11, 0x3f3d2fb0, v71, -v182
	s_delay_alu instid0(VALU_DEP_1) | instskip(SKIP_1) | instid1(VALU_DEP_1)
	v_add_f32_e32 v9, v11, v9
	v_fma_f32 v11, 0xbf7ba420, v76, -v184
	v_add_f32_e32 v9, v11, v9
	v_fmamk_f32 v11, v50, 0x3ee437d1, v190
	v_add_f32_e32 v8, v10, v8
	v_fmamk_f32 v10, v57, 0xbf59a7d5, v179
	s_delay_alu instid0(VALU_DEP_1) | instskip(SKIP_1) | instid1(VALU_DEP_1)
	v_add_f32_e32 v8, v10, v8
	v_fmamk_f32 v10, v62, 0x3dbcf732, v174
	v_add_f32_e32 v8, v10, v8
	v_fmamk_f32 v10, v70, 0x3f3d2fb0, v175
	s_delay_alu instid0(VALU_DEP_1) | instskip(SKIP_1) | instid1(VALU_DEP_1)
	v_add_f32_e32 v8, v10, v8
	v_fmamk_f32 v10, v75, 0xbf7ba420, v177
	v_add_f32_e32 v8, v10, v8
	v_add_f32_e32 v10, v156, v12
	v_fma_f32 v156, 0xbf59a7d5, v49, -v202
	s_delay_alu instid0(VALU_DEP_2) | instskip(NEXT) | instid1(VALU_DEP_2)
	v_dual_add_f32 v10, v11, v10 :: v_dual_fmamk_f32 v11, v52, 0x3dbcf732, v196
	v_add_f32_e32 v156, v156, v13
	s_delay_alu instid0(VALU_DEP_2) | instskip(NEXT) | instid1(VALU_DEP_2)
	v_dual_add_f32 v10, v11, v10 :: v_dual_fmamk_f32 v11, v57, 0xbf1a4643, v194
	v_add_f32_e32 v156, v157, v156
	v_fma_f32 v157, 0x3dbcf732, v53, -v203
	s_delay_alu instid0(VALU_DEP_3) | instskip(NEXT) | instid1(VALU_DEP_2)
	v_dual_add_f32 v10, v11, v10 :: v_dual_fmamk_f32 v11, v62, 0x3f6eb680, v193
	v_add_f32_e32 v156, v157, v156
	v_fma_f32 v157, 0xbf1a4643, v58, -v200
	s_delay_alu instid0(VALU_DEP_3) | instskip(NEXT) | instid1(VALU_DEP_2)
	v_dual_add_f32 v10, v11, v10 :: v_dual_fmamk_f32 v11, v70, 0xbf7ba420, v191
	v_add_f32_e32 v156, v157, v156
	v_fma_f32 v157, 0x3f6eb680, v63, -v199
	s_delay_alu instid0(VALU_DEP_1) | instskip(SKIP_2) | instid1(VALU_DEP_2)
	v_dual_add_f32 v10, v11, v10 :: v_dual_add_f32 v11, v157, v156
	v_fma_f32 v156, 0xbf7ba420, v71, -v198
	v_fmamk_f32 v157, v75, 0x3f3d2fb0, v192
	v_add_f32_e32 v11, v156, v11
	v_fma_f32 v156, 0x3f3d2fb0, v76, -v197
	s_delay_alu instid0(VALU_DEP_3) | instskip(NEXT) | instid1(VALU_DEP_2)
	v_dual_add_f32 v157, v157, v10 :: v_dual_add_f32 v10, v158, v8
	v_add_f32_e32 v156, v156, v11
	v_add_f32_e32 v11, v160, v9
	s_delay_alu instid0(VALU_DEP_2)
	v_dual_add_f32 v8, v161, v157 :: v_dual_add_f32 v9, v162, v156
	s_and_saveexec_b32 s0, vcc_lo
	s_cbranch_execz .LBB0_7
; %bb.6:
	v_dual_mul_f32 v161, 0x3eb8f4ab, v103 :: v_dual_mul_f32 v102, 0x3eb8f4ab, v102
	v_dual_mul_f32 v162, 0xbf06c442, v113 :: v_dual_mul_f32 v103, 0xbf06c442, v112
	v_mul_f32_e32 v158, 0xbe3c28d5, v47
	v_dual_mul_f32 v211, 0xbf1a4643, v48 :: v_dual_mul_f32 v212, 0xbf1a4643, v49
	s_delay_alu instid0(VALU_DEP_4) | instskip(SKIP_4) | instid1(VALU_DEP_4)
	v_fma_f32 v113, 0x3f6eb680, v50, -v102
	v_mul_f32_e32 v160, 0xbe3c28d5, v46
	v_fmamk_f32 v214, v53, 0xbf59a7d5, v162
	v_fmamk_f32 v163, v51, 0x3f6eb680, v161
	v_dual_mul_f32 v209, 0xbe8c1d8e, v48 :: v_dual_mul_f32 v210, 0xbe8c1d8e, v49
	v_fma_f32 v47, 0xbf7ba420, v48, -v160
	v_dual_mul_f32 v207, 0x3dbcf732, v48 :: v_dual_mul_f32 v208, 0x3dbcf732, v49
	v_dual_mul_f32 v205, 0x3ee437d1, v48 :: v_dual_mul_f32 v206, 0x3ee437d1, v49
	s_delay_alu instid0(VALU_DEP_3) | instskip(SKIP_2) | instid1(VALU_DEP_3)
	v_dual_add_f32 v47, v47, v12 :: v_dual_add_f32 v166, v166, v210
	v_mul_f32_e32 v210, 0x3ee437d1, v58
	v_dual_mul_f32 v171, 0x3f3d2fb0, v48 :: v_dual_mul_f32 v172, 0x3f3d2fb0, v49
	v_add_f32_e32 v47, v113, v47
	v_fma_f32 v113, 0xbf59a7d5, v52, -v103
	v_mul_f32_e32 v112, 0x3f2c7751, v114
	v_add_f32_e32 v166, v166, v13
	v_dual_mul_f32 v156, 0x3f6eb680, v48 :: v_dual_mul_f32 v157, 0x3f6eb680, v49
	s_delay_alu instid0(VALU_DEP_4)
	v_add_f32_e32 v47, v113, v47
	v_fmamk_f32 v46, v49, 0xbf7ba420, v158
	v_mul_f32_e32 v213, 0xbf59a7d5, v48
	v_mul_f32_e32 v113, 0xbf4c4adb, v124
	;; [unrolled: 1-line block ×4, first 2 shown]
	v_add_f32_e32 v46, v46, v13
	v_dual_mul_f32 v145, 0x3dbcf732, v53 :: v_dual_add_f32 v14, v14, v12
	v_fmac_f32_e32 v160, 0xbf7ba420, v48
	v_fmac_f32_e32 v102, 0x3f6eb680, v50
	s_delay_alu instid0(VALU_DEP_4) | instskip(SKIP_4) | instid1(VALU_DEP_4)
	v_dual_add_f32 v46, v163, v46 :: v_dual_mul_f32 v163, 0x3f2c7751, v116
	v_fma_f32 v116, 0x3f3d2fb0, v57, -v112
	v_mul_f32_e32 v215, 0x3f3d2fb0, v50
	v_add_f32_e32 v14, v36, v14
	v_fmac_f32_e32 v112, 0x3f3d2fb0, v57
	v_dual_fmamk_f32 v114, v58, 0x3f3d2fb0, v163 :: v_dual_add_f32 v47, v116, v47
	v_fma_f32 v116, 0xbf1a4643, v62, -v113
	v_sub_f32_e32 v56, v215, v56
	v_dual_add_f32 v145, v203, v145 :: v_dual_add_f32 v14, v38, v14
	v_sub_f32_e32 v189, v213, v189
	s_delay_alu instid0(VALU_DEP_4) | instskip(NEXT) | instid1(VALU_DEP_3)
	v_dual_add_f32 v47, v116, v47 :: v_dual_add_f32 v46, v214, v46
	v_dual_mul_f32 v125, 0xbf4c4adb, v125 :: v_dual_add_f32 v14, v32, v14
	v_mul_f32_e32 v203, 0x3dbcf732, v50
	s_delay_alu instid0(VALU_DEP_3) | instskip(SKIP_2) | instid1(VALU_DEP_4)
	v_dual_add_f32 v189, v189, v12 :: v_dual_add_f32 v46, v114, v46
	v_mul_f32_e32 v114, 0x3f65296c, v132
	v_fmamk_f32 v132, v71, 0x3ee437d1, v124
	v_dual_mul_f32 v213, 0xbf1a4643, v50 :: v_dual_sub_f32 v88, v203, v88
	v_add_f32_e32 v181, v181, v212
	s_delay_alu instid0(VALU_DEP_4) | instskip(SKIP_2) | instid1(VALU_DEP_4)
	v_fma_f32 v116, 0x3ee437d1, v70, -v114
	v_fmamk_f32 v214, v63, 0xbf1a4643, v125
	v_dual_fmac_f32 v114, 0x3ee437d1, v70 :: v_dual_sub_f32 v207, v207, v129
	v_add_f32_e32 v181, v181, v13
	s_delay_alu instid0(VALU_DEP_3) | instskip(SKIP_3) | instid1(VALU_DEP_4)
	v_dual_add_f32 v47, v116, v47 :: v_dual_add_f32 v46, v214, v46
	v_mul_f32_e32 v214, 0xbf59a7d5, v49
	v_mul_f32_e32 v116, 0xbf763a35, v142
	v_dual_mul_f32 v142, 0x3f7ee86f, v147 :: v_dual_sub_f32 v173, v211, v173
	v_add_f32_e32 v46, v132, v46
	v_mul_f32_e32 v132, 0x3ee437d1, v51
	v_add_f32_e32 v202, v202, v214
	v_fmamk_f32 v214, v76, 0xbe8c1d8e, v135
	v_mul_f32_e32 v211, 0xbf7ba420, v62
	s_delay_alu instid0(VALU_DEP_4)
	v_dual_mul_f32 v216, 0xbf1a4643, v70 :: v_dual_add_f32 v147, v204, v132
	v_mul_f32_e32 v132, 0x3f7ee86f, v146
	v_add_f32_e32 v146, v202, v13
	v_fma_f32 v204, 0xbe8c1d8e, v75, -v116
	v_fmamk_f32 v202, v80, 0x3dbcf732, v142
	v_dual_fmac_f32 v116, 0xbe8c1d8e, v75 :: v_dual_add_f32 v173, v173, v12
	s_delay_alu instid0(VALU_DEP_4) | instskip(NEXT) | instid1(VALU_DEP_4)
	v_add_f32_e32 v146, v147, v146
	v_add_f32_e32 v204, v204, v47
	v_dual_mul_f32 v147, 0x3f3d2fb0, v51 :: v_dual_add_f32 v46, v214, v46
	v_fma_f32 v214, 0x3dbcf732, v79, -v132
	s_delay_alu instid0(VALU_DEP_4) | instskip(SKIP_3) | instid1(VALU_DEP_3)
	v_add_f32_e32 v145, v145, v146
	v_dual_mul_f32 v146, 0x3ee437d1, v50 :: v_dual_add_f32 v139, v139, v208
	v_mul_f32_e32 v208, 0x3ee437d1, v75
	v_sub_f32_e32 v155, v211, v155
	v_dual_sub_f32 v151, v209, v151 :: v_dual_sub_f32 v146, v146, v190
	s_delay_alu instid0(VALU_DEP_4) | instskip(SKIP_1) | instid1(VALU_DEP_3)
	v_dual_mul_f32 v190, 0xbf1a4643, v51 :: v_dual_add_f32 v139, v139, v13
	v_mul_f32_e32 v209, 0xbf1a4643, v75
	v_dual_add_f32 v151, v151, v12 :: v_dual_add_f32 v146, v146, v189
	v_mul_f32_e32 v189, 0xbf7ba420, v71
	v_add_f32_e32 v47, v202, v46
	v_add_f32_e32 v46, v214, v204
	v_mul_f32_e32 v202, 0x3dbcf732, v51
	v_add_f32_e32 v118, v118, v190
	v_dual_add_f32 v189, v198, v189 :: v_dual_mul_f32 v204, 0xbf1a4643, v58
	v_mul_f32_e32 v211, 0x3f3d2fb0, v80
	v_add_f32_e32 v117, v117, v206
	v_sub_f32_e32 v111, v205, v111
	s_delay_alu instid0(VALU_DEP_4) | instskip(SKIP_1) | instid1(VALU_DEP_4)
	v_dual_add_f32 v97, v97, v202 :: v_dual_add_f32 v200, v200, v204
	v_sub_f32_e32 v69, v171, v69
	v_add_f32_e32 v117, v117, v13
	s_delay_alu instid0(VALU_DEP_4) | instskip(SKIP_2) | instid1(VALU_DEP_4)
	v_add_f32_e32 v111, v111, v12
	v_add_f32_e32 v15, v15, v13
	v_dual_add_f32 v145, v200, v145 :: v_dual_mul_f32 v200, 0x3dbcf732, v52
	v_add_f32_e32 v117, v118, v117
	v_add_f32_e32 v69, v69, v12
	s_delay_alu instid0(VALU_DEP_4) | instskip(NEXT) | instid1(VALU_DEP_4)
	v_add_f32_e32 v15, v37, v15
	v_dual_fmac_f32 v113, 0xbf1a4643, v62 :: v_dual_sub_f32 v196, v200, v196
	s_delay_alu instid0(VALU_DEP_3) | instskip(NEXT) | instid1(VALU_DEP_3)
	v_dual_mul_f32 v200, 0xbf7ba420, v51 :: v_dual_add_f32 v69, v88, v69
	v_add_f32_e32 v15, v39, v15
	s_delay_alu instid0(VALU_DEP_3) | instskip(SKIP_1) | instid1(VALU_DEP_3)
	v_dual_add_f32 v59, v59, v147 :: v_dual_add_f32 v146, v196, v146
	v_mul_f32_e32 v196, 0x3f3d2fb0, v76
	v_dual_add_f32 v140, v140, v200 :: v_dual_add_f32 v15, v33, v15
	v_fmac_f32_e32 v103, 0xbf59a7d5, v52
	s_delay_alu instid0(VALU_DEP_3) | instskip(SKIP_3) | instid1(VALU_DEP_3)
	v_add_f32_e32 v196, v197, v196
	v_mul_f32_e32 v204, 0x3f6eb680, v63
	v_mul_f32_e32 v197, 0xbe8c1d8e, v50
	v_add_f32_e32 v15, v35, v15
	v_add_f32_e32 v199, v199, v204
	s_delay_alu instid0(VALU_DEP_3) | instskip(NEXT) | instid1(VALU_DEP_3)
	v_dual_sub_f32 v176, v197, v176 :: v_dual_mul_f32 v197, 0x3dbcf732, v58
	v_add_f32_e32 v15, v41, v15
	s_delay_alu instid0(VALU_DEP_3) | instskip(SKIP_1) | instid1(VALU_DEP_3)
	v_dual_fmac_f32 v132, 0x3dbcf732, v79 :: v_dual_add_f32 v145, v199, v145
	v_mul_f32_e32 v199, 0xbf1a4643, v57
	v_add_f32_e32 v15, v43, v15
	s_delay_alu instid0(VALU_DEP_3) | instskip(SKIP_1) | instid1(VALU_DEP_4)
	v_add_f32_e32 v145, v189, v145
	v_mul_f32_e32 v189, 0x3f6eb680, v62
	v_dual_sub_f32 v194, v199, v194 :: v_dual_mul_f32 v199, 0xbf59a7d5, v51
	s_delay_alu instid0(VALU_DEP_4) | instskip(NEXT) | instid1(VALU_DEP_3)
	v_add_f32_e32 v15, v29, v15
	v_sub_f32_e32 v189, v189, v193
	v_mul_f32_e32 v193, 0xbe8c1d8e, v51
	v_mul_f32_e32 v204, 0xbf7ba420, v50
	v_dual_add_f32 v168, v168, v199 :: v_dual_mul_f32 v199, 0xbe8c1d8e, v62
	v_add_f32_e32 v31, v31, v15
	s_delay_alu instid0(VALU_DEP_4) | instskip(SKIP_2) | instid1(VALU_DEP_3)
	v_add_f32_e32 v183, v183, v193
	v_dual_mul_f32 v193, 0xbf1a4643, v53 :: v_dual_add_f32 v146, v194, v146
	v_mul_f32_e32 v194, 0xbe8c1d8e, v80
	v_dual_mul_f32 v198, 0xbf59a7d5, v50 :: v_dual_add_f32 v181, v183, v181
	v_dual_mul_f32 v183, 0xbe8c1d8e, v79 :: v_dual_sub_f32 v126, v204, v126
	s_delay_alu instid0(VALU_DEP_3) | instskip(SKIP_1) | instid1(VALU_DEP_3)
	v_add_f32_e32 v194, v201, v194
	v_mul_f32_e32 v201, 0xbf7ba420, v70
	v_dual_sub_f32 v154, v198, v154 :: v_dual_sub_f32 v183, v183, v195
	v_add_f32_e32 v166, v168, v166
	v_mul_f32_e32 v168, 0xbf7ba420, v75
	s_delay_alu instid0(VALU_DEP_4) | instskip(SKIP_2) | instid1(VALU_DEP_4)
	v_sub_f32_e32 v191, v201, v191
	v_mul_f32_e32 v201, 0x3f3d2fb0, v75
	v_add_f32_e32 v151, v154, v151
	v_dual_mul_f32 v195, 0xbe8c1d8e, v52 :: v_dual_sub_f32 v168, v168, v177
	s_delay_alu instid0(VALU_DEP_3) | instskip(SKIP_1) | instid1(VALU_DEP_3)
	v_dual_mul_f32 v177, 0x3f3d2fb0, v63 :: v_dual_sub_f32 v192, v201, v192
	v_dual_mul_f32 v201, 0xbf7ba420, v52 :: v_dual_add_f32 v146, v189, v146
	v_dual_mul_f32 v198, 0x3dbcf732, v70 :: v_dual_sub_f32 v127, v195, v127
	s_delay_alu instid0(VALU_DEP_2) | instskip(NEXT) | instid1(VALU_DEP_3)
	v_dual_mul_f32 v154, 0xbf59a7d5, v71 :: v_dual_sub_f32 v105, v201, v105
	v_dual_add_f32 v146, v191, v146 :: v_dual_mul_f32 v191, 0x3f6eb680, v53
	v_dual_add_f32 v145, v196, v145 :: v_dual_mul_f32 v196, 0x3ee437d1, v52
	s_delay_alu instid0(VALU_DEP_2) | instskip(NEXT) | instid1(VALU_DEP_3)
	v_dual_sub_f32 v153, v198, v153 :: v_dual_add_f32 v192, v192, v146
	v_add_f32_e32 v186, v186, v191
	v_mul_f32_e32 v146, 0xbf59a7d5, v58
	v_mul_f32_e32 v191, 0xbf7ba420, v53
	;; [unrolled: 1-line block ×3, first 2 shown]
	v_add_f32_e32 v94, v94, v193
	v_mul_f32_e32 v189, 0x3ee437d1, v53
	v_dual_add_f32 v187, v187, v146 :: v_dual_add_f32 v146, v194, v145
	v_add_f32_e32 v145, v183, v192
	v_dual_mul_f32 v212, 0xbf1a4643, v52 :: v_dual_add_f32 v181, v186, v181
	v_mul_f32_e32 v186, 0xbe8c1d8e, v53
	v_mul_f32_e32 v192, 0x3dbcf732, v63
	;; [unrolled: 1-line block ×3, first 2 shown]
	v_add_f32_e32 v169, v169, v198
	v_add_f32_e32 v181, v187, v181
	v_mul_f32_e32 v187, 0x3f6eb680, v52
	s_delay_alu instid0(VALU_DEP_4) | instskip(SKIP_2) | instid1(VALU_DEP_4)
	v_dual_add_f32 v180, v180, v192 :: v_dual_add_f32 v167, v167, v183
	v_mul_f32_e32 v183, 0xbf59a7d5, v63
	v_add_f32_e32 v141, v141, v186
	v_dual_sub_f32 v178, v187, v178 :: v_dual_mul_f32 v187, 0xbe8c1d8e, v57
	v_dual_mul_f32 v214, 0x3f3d2fb0, v52 :: v_dual_add_f32 v173, v176, v173
	v_mul_f32_e32 v192, 0x3f3d2fb0, v71
	v_add_f32_e32 v180, v180, v181
	v_dual_add_f32 v166, v167, v166 :: v_dual_mul_f32 v167, 0x3ee437d1, v79
	s_delay_alu instid0(VALU_DEP_4) | instskip(NEXT) | instid1(VALU_DEP_4)
	v_add_f32_e32 v173, v178, v173
	v_add_f32_e32 v182, v182, v192
	v_mul_f32_e32 v178, 0x3ee437d1, v80
	s_delay_alu instid0(VALU_DEP_4) | instskip(NEXT) | instid1(VALU_DEP_3)
	v_dual_mul_f32 v186, 0x3f6eb680, v75 :: v_dual_sub_f32 v167, v167, v185
	v_dual_mul_f32 v185, 0x3ee437d1, v63 :: v_dual_add_f32 v180, v182, v180
	v_mul_f32_e32 v182, 0xbf59a7d5, v57
	v_mul_f32_e32 v194, 0x3dbcf732, v57
	v_add_f32_e32 v178, v188, v178
	v_mul_f32_e32 v188, 0x3dbcf732, v62
	v_add_f32_e32 v165, v165, v210
	v_dual_sub_f32 v179, v182, v179 :: v_dual_mul_f32 v182, 0x3f6eb680, v57
	v_add_f32_e32 v144, v144, v185
	s_delay_alu instid0(VALU_DEP_4) | instskip(NEXT) | instid1(VALU_DEP_3)
	v_sub_f32_e32 v174, v188, v174
	v_dual_mul_f32 v188, 0x3f3d2fb0, v70 :: v_dual_add_f32 v173, v179, v173
	v_mul_f32_e32 v192, 0xbf7ba420, v58
	v_mul_f32_e32 v176, 0xbf7ba420, v76
	s_delay_alu instid0(VALU_DEP_3) | instskip(NEXT) | instid1(VALU_DEP_4)
	v_dual_add_f32 v166, v165, v166 :: v_dual_sub_f32 v175, v188, v175
	v_dual_add_f32 v173, v174, v173 :: v_dual_mul_f32 v188, 0xbf59a7d5, v62
	s_delay_alu instid0(VALU_DEP_3) | instskip(SKIP_2) | instid1(VALU_DEP_4)
	v_add_f32_e32 v176, v184, v176
	v_mul_f32_e32 v184, 0xbe8c1d8e, v58
	v_mul_f32_e32 v185, 0x3f3d2fb0, v79
	v_add_f32_e32 v173, v175, v173
	s_delay_alu instid0(VALU_DEP_4) | instskip(SKIP_2) | instid1(VALU_DEP_4)
	v_dual_mul_f32 v175, 0x3f3d2fb0, v62 :: v_dual_add_f32 v176, v176, v180
	v_add_f32_e32 v139, v140, v139
	v_mul_f32_e32 v179, 0x3ee437d1, v57
	v_dual_add_f32 v168, v168, v173 :: v_dual_mul_f32 v173, 0xbf7ba420, v63
	s_delay_alu instid0(VALU_DEP_4) | instskip(SKIP_2) | instid1(VALU_DEP_4)
	v_dual_mul_f32 v180, 0x3f6eb680, v58 :: v_dual_add_f32 v165, v178, v176
	v_mul_f32_e32 v176, 0xbe8c1d8e, v71
	v_dual_mul_f32 v178, 0x3f6eb680, v70 :: v_dual_add_f32 v139, v141, v139
	v_dual_add_f32 v173, v164, v173 :: v_dual_sub_f32 v152, v214, v152
	v_mul_f32_e32 v210, 0x3ee437d1, v62
	v_dual_sub_f32 v150, v179, v150 :: v_dual_mul_f32 v141, 0xbf7ba420, v80
	s_delay_alu instid0(VALU_DEP_3) | instskip(SKIP_3) | instid1(VALU_DEP_4)
	v_dual_add_f32 v166, v173, v166 :: v_dual_add_f32 v151, v152, v151
	v_mul_f32_e32 v179, 0x3ee437d1, v76
	v_add_f32_e32 v164, v167, v168
	v_dual_mul_f32 v168, 0x3dbcf732, v71 :: v_dual_add_f32 v143, v143, v180
	v_dual_add_f32 v150, v150, v151 :: v_dual_mul_f32 v151, 0x3dbcf732, v76
	s_delay_alu instid0(VALU_DEP_2) | instskip(SKIP_1) | instid1(VALU_DEP_4)
	v_dual_mul_f32 v174, 0xbe8c1d8e, v63 :: v_dual_add_f32 v159, v159, v168
	v_mul_f32_e32 v168, 0x3f6eb680, v76
	v_dual_mul_f32 v140, 0xbf1a4643, v76 :: v_dual_add_f32 v139, v143, v139
	s_delay_alu instid0(VALU_DEP_4) | instskip(NEXT) | instid1(VALU_DEP_3)
	v_add_f32_e32 v150, v155, v150
	v_dual_add_f32 v159, v159, v166 :: v_dual_add_f32 v168, v170, v168
	v_mul_f32_e32 v166, 0x3f6eb680, v71
	s_delay_alu instid0(VALU_DEP_3) | instskip(SKIP_1) | instid1(VALU_DEP_4)
	v_dual_add_f32 v139, v144, v139 :: v_dual_add_f32 v150, v153, v150
	v_add_f32_e32 v118, v119, v191
	v_add_f32_e32 v159, v168, v159
	v_mul_f32_e32 v168, 0xbf59a7d5, v75
	v_mul_f32_e32 v152, 0xbf59a7d5, v76
	v_dual_mul_f32 v170, 0xbf59a7d5, v70 :: v_dual_mul_f32 v153, 0xbf59a7d5, v79
	s_delay_alu instid0(VALU_DEP_4) | instskip(SKIP_4) | instid1(VALU_DEP_4)
	v_add_f32_e32 v129, v169, v159
	v_add_f32_e32 v159, v207, v12
	v_dual_mul_f32 v198, 0x3f6eb680, v80 :: v_dual_add_f32 v117, v118, v117
	v_mul_f32_e32 v143, 0xbf59a7d5, v80
	v_dual_mul_f32 v200, 0x3dbcf732, v75 :: v_dual_sub_f32 v149, v186, v149
	v_add_f32_e32 v126, v126, v159
	s_delay_alu instid0(VALU_DEP_3) | instskip(SKIP_1) | instid1(VALU_DEP_3)
	v_dual_add_f32 v122, v122, v166 :: v_dual_add_f32 v115, v115, v143
	v_dual_mul_f32 v181, 0xbf7ba420, v57 :: v_dual_add_f32 v72, v72, v172
	v_dual_add_f32 v126, v127, v126 :: v_dual_sub_f32 v127, v182, v128
	v_dual_mul_f32 v180, 0x3f6eb680, v79 :: v_dual_add_f32 v119, v149, v150
	v_sub_f32_e32 v88, v212, v90
	v_sub_f32_e32 v104, v213, v104
	s_delay_alu instid0(VALU_DEP_4)
	v_add_f32_e32 v126, v127, v126
	v_dual_sub_f32 v127, v210, v130 :: v_dual_add_f32 v118, v120, v184
	v_mul_f32_e32 v206, 0xbf1a4643, v79
	v_add_f32_e32 v120, v137, v140
	v_add_f32_e32 v72, v72, v13
	;; [unrolled: 1-line block ×4, first 2 shown]
	v_dual_add_f32 v118, v121, v177 :: v_dual_add_f32 v121, v127, v126
	v_sub_f32_e32 v126, v170, v131
	v_add_f32_e32 v136, v136, v154
	v_sub_f32_e32 v130, v206, v148
	v_add_f32_e32 v104, v104, v111
	v_dual_sub_f32 v88, v181, v91 :: v_dual_sub_f32 v91, v178, v108
	s_delay_alu instid0(VALU_DEP_4) | instskip(SKIP_2) | instid1(VALU_DEP_3)
	v_add_f32_e32 v128, v136, v139
	v_dual_add_f32 v118, v118, v117 :: v_dual_mul_f32 v173, 0xbe8c1d8e, v70
	v_dual_mul_f32 v155, 0xbf7ba420, v79 :: v_dual_add_f32 v72, v97, v72
	v_add_f32_e32 v120, v120, v128
	v_dual_add_f32 v128, v130, v119 :: v_dual_add_f32 v97, v105, v104
	s_delay_alu instid0(VALU_DEP_4) | instskip(SKIP_3) | instid1(VALU_DEP_3)
	v_dual_add_f32 v118, v122, v118 :: v_dual_add_f32 v69, v88, v69
	v_dual_sub_f32 v88, v188, v92 :: v_dual_sub_f32 v33, v194, v67
	v_dual_sub_f32 v54, v156, v54 :: v_dual_add_f32 v37, v61, v189
	v_add_f32_e32 v127, v138, v211
	v_add_f32_e32 v69, v88, v69
	v_sub_f32_e32 v88, v173, v93
	v_sub_f32_e32 v104, v187, v106
	v_add_f32_e32 v54, v54, v12
	v_dual_add_f32 v92, v100, v179 :: v_dual_add_f32 v117, v127, v120
	s_delay_alu instid0(VALU_DEP_4) | instskip(NEXT) | instid1(VALU_DEP_4)
	v_add_f32_e32 v69, v88, v69
	v_add_f32_e32 v90, v104, v97
	v_sub_f32_e32 v88, v208, v95
	v_add_f32_e32 v72, v94, v72
	v_add_f32_e32 v94, v96, v192
	v_sub_f32_e32 v96, v175, v107
	v_add_f32_e32 v54, v56, v54
	v_sub_f32_e32 v56, v196, v60
	s_delay_alu instid0(VALU_DEP_4) | instskip(SKIP_2) | instid1(VALU_DEP_4)
	v_dual_add_f32 v69, v88, v69 :: v_dual_add_f32 v72, v94, v72
	v_add_f32_e32 v94, v98, v183
	v_add_f32_e32 v90, v96, v90
	v_dual_add_f32 v39, v56, v54 :: v_dual_add_f32 v120, v123, v151
	v_dual_sub_f32 v93, v153, v110 :: v_dual_add_f32 v12, v160, v12
	s_delay_alu instid0(VALU_DEP_3) | instskip(NEXT) | instid1(VALU_DEP_3)
	v_add_f32_e32 v90, v91, v90
	v_dual_add_f32 v32, v33, v39 :: v_dual_sub_f32 v33, v199, v73
	v_add_f32_e32 v72, v94, v72
	v_dual_add_f32 v94, v99, v176 :: v_dual_sub_f32 v91, v200, v109
	v_add_f32_e32 v118, v120, v118
	s_delay_alu instid0(VALU_DEP_4) | instskip(NEXT) | instid1(VALU_DEP_3)
	v_dual_add_f32 v32, v33, v32 :: v_dual_sub_f32 v33, v216, v77
	v_add_f32_e32 v72, v94, v72
	v_dual_add_f32 v94, v55, v157 :: v_dual_add_f32 v25, v25, v31
	v_fma_f32 v31, 0xbf7ba420, v49, -v158
	v_add_f32_e32 v12, v102, v12
	s_delay_alu instid0(VALU_DEP_4) | instskip(SKIP_4) | instid1(VALU_DEP_4)
	v_add_f32_e32 v72, v92, v72
	v_dual_add_f32 v92, v101, v198 :: v_dual_sub_f32 v29, v168, v81
	v_add_f32_e32 v25, v27, v25
	v_fma_f32 v27, 0x3f6eb680, v51, -v161
	v_add_f32_e32 v12, v103, v12
	v_dual_add_f32 v55, v92, v72 :: v_dual_add_f32 v72, v94, v13
	v_add_f32_e32 v13, v31, v13
	v_add_f32_e32 v21, v21, v25
	v_fma_f32 v25, 0xbf59a7d5, v53, -v162
	v_mul_f32_e32 v167, 0xbf1a4643, v71
	v_add_f32_e32 v59, v59, v72
	v_add_f32_e32 v13, v27, v13
	;; [unrolled: 1-line block ×3, first 2 shown]
	v_fma_f32 v23, 0x3f3d2fb0, v58, -v163
	v_sub_f32_e32 v88, v180, v89
	v_dual_add_f32 v36, v37, v59 :: v_dual_add_f32 v37, v68, v197
	v_add_f32_e32 v13, v25, v13
	v_add_f32_e32 v17, v17, v21
	v_fma_f32 v21, 0xbf1a4643, v63, -v125
	v_add_f32_e32 v12, v112, v12
	v_dual_add_f32 v36, v37, v36 :: v_dual_add_f32 v37, v74, v174
	s_delay_alu instid0(VALU_DEP_4) | instskip(NEXT) | instid1(VALU_DEP_3)
	v_add_f32_e32 v17, v19, v17
	v_dual_add_f32 v13, v23, v13 :: v_dual_add_f32 v12, v113, v12
	v_add_f32_e32 v119, v126, v121
	s_delay_alu instid0(VALU_DEP_4) | instskip(NEXT) | instid1(VALU_DEP_3)
	v_dual_add_f32 v35, v37, v36 :: v_dual_add_f32 v90, v91, v90
	v_dual_add_f32 v19, v21, v13 :: v_dual_add_f32 v14, v34, v14
	;; [unrolled: 1-line block ×3, first 2 shown]
	s_delay_alu instid0(VALU_DEP_3) | instskip(NEXT) | instid1(VALU_DEP_3)
	v_add_f32_e32 v90, v93, v90
	v_dual_sub_f32 v121, v209, v133 :: v_dual_add_f32 v14, v40, v14
	s_delay_alu instid0(VALU_DEP_3) | instskip(SKIP_1) | instid1(VALU_DEP_3)
	v_dual_add_f32 v91, v115, v118 :: v_dual_add_f32 v34, v34, v35
	v_add_f32_e32 v35, v82, v152
	v_dual_add_f32 v119, v121, v119 :: v_dual_add_f32 v14, v42, v14
	v_dual_sub_f32 v121, v185, v134 :: v_dual_add_f32 v54, v88, v69
	s_delay_alu instid0(VALU_DEP_2) | instskip(NEXT) | instid1(VALU_DEP_1)
	v_add_f32_e32 v14, v28, v14
	v_add_f32_e32 v30, v30, v14
	s_delay_alu instid0(VALU_DEP_1) | instskip(NEXT) | instid1(VALU_DEP_1)
	v_add_f32_e32 v24, v24, v30
	v_add_f32_e32 v24, v26, v24
	s_delay_alu instid0(VALU_DEP_1) | instskip(NEXT) | instid1(VALU_DEP_1)
	v_add_f32_e32 v20, v20, v24
	v_add_f32_e32 v20, v22, v20
	s_delay_alu instid0(VALU_DEP_1) | instskip(SKIP_1) | instid1(VALU_DEP_1)
	v_add_f32_e32 v16, v16, v20
	v_fma_f32 v20, 0x3ee437d1, v71, -v124
	v_dual_add_f32 v16, v18, v16 :: v_dual_add_f32 v17, v20, v19
	v_add_f32_e32 v19, v114, v12
	v_add_f32_e32 v32, v33, v32
	v_fma_f32 v18, 0xbe8c1d8e, v76, -v135
	v_dual_add_f32 v33, v35, v34 :: v_dual_add_f32 v34, v84, v141
	s_delay_alu instid0(VALU_DEP_3) | instskip(SKIP_1) | instid1(VALU_DEP_4)
	v_dual_add_f32 v19, v116, v19 :: v_dual_add_f32 v28, v29, v32
	v_dual_sub_f32 v29, v155, v83 :: v_dual_add_f32 v12, v44, v16
	v_dual_add_f32 v17, v18, v17 :: v_dual_and_b32 v16, 0xffff, v87
	v_fma_f32 v18, 0x3dbcf732, v80, -v142
	s_delay_alu instid0(VALU_DEP_3) | instskip(NEXT) | instid1(VALU_DEP_3)
	v_dual_add_f32 v15, v34, v33 :: v_dual_add_f32 v14, v29, v28
	v_lshlrev_b32_e32 v20, 3, v16
	s_delay_alu instid0(VALU_DEP_3)
	v_dual_add_f32 v116, v121, v119 :: v_dual_add_f32 v17, v18, v17
	v_add_f32_e32 v16, v132, v19
	ds_store_2addr_b64 v20, v[12:13], v[14:15] offset1:1
	ds_store_2addr_b64 v20, v[54:55], v[90:91] offset0:2 offset1:3
	ds_store_2addr_b64 v20, v[116:117], v[128:129] offset0:4 offset1:5
	;; [unrolled: 1-line block ×7, first 2 shown]
	ds_store_b64 v20, v[65:66] offset:128
.LBB0_7:
	s_wait_alu 0xfffe
	s_or_b32 exec_lo, exec_lo, s0
	v_and_b32_e32 v12, 0xff, v86
	s_load_b128 s[0:3], s[2:3], 0x0
	global_wb scope:SCOPE_SE
	s_wait_dscnt 0x0
	s_wait_kmcnt 0x0
	s_barrier_signal -1
	s_barrier_wait -1
	v_mul_lo_u16 v12, 0xf1, v12
	global_inv scope:SCOPE_SE
	v_mad_co_u64_u32 v[48:49], null, 0x48, v86, s[4:5]
	v_lshrrev_b16 v36, 12, v12
	s_delay_alu instid0(VALU_DEP_1) | instskip(NEXT) | instid1(VALU_DEP_1)
	v_mul_lo_u16 v12, v36, 17
	v_sub_nc_u16 v12, v86, v12
	s_delay_alu instid0(VALU_DEP_1) | instskip(NEXT) | instid1(VALU_DEP_1)
	v_and_b32_e32 v50, 0xff, v12
	v_mad_co_u64_u32 v[28:29], null, 0x48, v50, s[4:5]
	s_clause 0x4
	global_load_b128 v[24:27], v[28:29], off
	global_load_b128 v[20:23], v[28:29], off offset:16
	global_load_b128 v[16:19], v[28:29], off offset:32
	;; [unrolled: 1-line block ×3, first 2 shown]
	global_load_b64 v[67:68], v[28:29], off offset:64
	v_add_nc_u32_e32 v71, 0x800, v85
	v_add_nc_u32_e32 v74, 0x1400, v85
	ds_load_2addr_b64 v[28:31], v85 offset1:170
	ds_load_2addr_b64 v[32:35], v71 offset0:84 offset1:254
	v_and_b32_e32 v44, 0xffff, v36
	ds_load_2addr_b64 v[36:39], v74 offset0:40 offset1:210
	s_wait_loadcnt_dscnt 0x401
	v_dual_mul_f32 v52, v33, v27 :: v_dual_add_nc_u32 v73, 0x1e00, v85
	s_wait_loadcnt_dscnt 0x300
	v_mul_f32_e32 v56, v37, v23
	ds_load_2addr_b64 v[40:43], v73 offset0:60 offset1:230
	v_add_nc_u32_e32 v72, 0x2800, v85
	v_mul_f32_e32 v55, v34, v21
	v_mul_u32_u24_e32 v51, 0xaa, v44
	v_dual_mul_f32 v53, v32, v27 :: v_dual_mul_f32 v54, v35, v21
	s_wait_loadcnt 0x2
	v_dual_mul_f32 v57, v36, v23 :: v_dual_mul_f32 v58, v39, v17
	s_delay_alu instid0(VALU_DEP_3)
	v_add_lshl_u32 v88, v51, v50, 3
	v_mul_f32_e32 v51, v30, v25
	v_mul_f32_e32 v59, v38, v17
	v_fmac_f32_e32 v53, v33, v26
	v_fmac_f32_e32 v57, v37, v22
	v_fma_f32 v33, v38, v16, -v58
	s_wait_dscnt 0x0
	v_mul_f32_e32 v60, v41, v19
	v_mul_f32_e32 v61, v40, v19
	ds_load_2addr_b64 v[44:47], v72 offset0:80 offset1:250
	v_mul_f32_e32 v50, v31, v25
	s_wait_loadcnt 0x1
	v_mul_f32_e32 v62, v43, v13
	v_mul_f32_e32 v63, v42, v13
	v_fmac_f32_e32 v61, v41, v18
	v_fmac_f32_e32 v59, v39, v16
	global_wb scope:SCOPE_SE
	s_wait_loadcnt_dscnt 0x0
	s_barrier_signal -1
	s_barrier_wait -1
	global_inv scope:SCOPE_SE
	v_sub_f32_e32 v41, v57, v61
	v_mul_f32_e32 v69, v45, v15
	v_dual_mul_f32 v70, v44, v15 :: v_dual_mul_f32 v75, v47, v68
	v_fma_f32 v50, v30, v24, -v50
	v_fma_f32 v30, v32, v26, -v52
	v_fmac_f32_e32 v51, v31, v24
	v_fma_f32 v31, v34, v20, -v54
	v_fma_f32 v32, v36, v22, -v56
	;; [unrolled: 1-line block ×3, first 2 shown]
	v_add_f32_e32 v38, v28, v30
	v_mul_f32_e32 v76, v46, v68
	v_fma_f32 v36, v44, v14, -v69
	v_fmac_f32_e32 v70, v45, v14
	v_add_f32_e32 v39, v32, v34
	v_fmac_f32_e32 v55, v35, v20
	v_fma_f32 v35, v42, v12, -v62
	v_fma_f32 v37, v46, v67, -v75
	v_dual_sub_f32 v40, v53, v70 :: v_dual_fmac_f32 v63, v43, v12
	v_sub_f32_e32 v54, v32, v34
	v_fmac_f32_e32 v76, v47, v67
	v_dual_sub_f32 v42, v30, v32 :: v_dual_sub_f32 v43, v36, v34
	v_dual_add_f32 v44, v30, v36 :: v_dual_sub_f32 v45, v32, v30
	v_dual_sub_f32 v46, v34, v36 :: v_dual_add_f32 v47, v29, v53
	v_dual_sub_f32 v56, v53, v57 :: v_dual_add_f32 v69, v50, v31
	;; [unrolled: 1-line block ×3, first 2 shown]
	v_dual_add_f32 v60, v53, v70 :: v_dual_sub_f32 v77, v55, v76
	v_dual_sub_f32 v80, v37, v35 :: v_dual_add_f32 v81, v31, v37
	v_add_f32_e32 v52, v57, v61
	v_dual_sub_f32 v30, v30, v36 :: v_dual_sub_f32 v53, v57, v53
	v_dual_sub_f32 v62, v61, v70 :: v_dual_sub_f32 v79, v31, v33
	v_sub_f32_e32 v78, v59, v63
	v_dual_sub_f32 v82, v33, v31 :: v_dual_sub_f32 v83, v35, v37
	v_add_f32_e32 v84, v51, v55
	v_dual_add_f32 v89, v59, v63 :: v_dual_add_f32 v32, v38, v32
	v_dual_sub_f32 v31, v31, v37 :: v_dual_sub_f32 v90, v33, v35
	v_sub_f32_e32 v91, v55, v59
	v_dual_sub_f32 v92, v76, v63 :: v_dual_add_f32 v93, v55, v76
	v_fma_f32 v95, -0.5, v39, v28
	v_dual_add_f32 v38, v42, v43 :: v_dual_add_f32 v39, v47, v57
	v_fma_f32 v43, -0.5, v44, v28
	v_add_f32_e32 v28, v45, v46
	v_fma_f32 v45, -0.5, v60, v29
	v_add_f32_e32 v33, v69, v33
	v_fma_f32 v44, -0.5, v75, v50
	v_dual_fmac_f32 v50, -0.5, v81 :: v_dual_add_f32 v57, v91, v92
	v_dual_sub_f32 v55, v59, v55 :: v_dual_add_f32 v42, v56, v58
	v_sub_f32_e32 v94, v63, v76
	v_fma_f32 v47, -0.5, v52, v29
	v_add_f32_e32 v29, v53, v62
	v_add_f32_e32 v53, v84, v59
	v_fma_f32 v56, -0.5, v89, v51
	v_add_f32_e32 v32, v32, v34
	v_dual_fmamk_f32 v58, v40, 0x3f737871, v95 :: v_dual_add_f32 v33, v33, v35
	v_fmac_f32_e32 v95, 0xbf737871, v40
	v_dual_fmamk_f32 v59, v41, 0xbf737871, v43 :: v_dual_add_f32 v34, v39, v61
	v_fmac_f32_e32 v43, 0x3f737871, v41
	v_dual_fmamk_f32 v61, v54, 0x3f737871, v45 :: v_dual_add_f32 v32, v32, v36
	v_fmamk_f32 v39, v78, 0xbf737871, v50
	v_fmac_f32_e32 v50, 0x3f737871, v78
	v_dual_add_f32 v46, v79, v80 :: v_dual_fmac_f32 v51, -0.5, v93
	v_dual_add_f32 v52, v82, v83 :: v_dual_add_f32 v55, v55, v94
	v_dual_fmamk_f32 v60, v30, 0xbf737871, v47 :: v_dual_add_f32 v53, v53, v63
	v_fmac_f32_e32 v45, 0xbf737871, v54
	v_dual_fmamk_f32 v35, v77, 0x3f737871, v44 :: v_dual_add_f32 v34, v34, v70
	v_fmamk_f32 v62, v31, 0xbf737871, v56
	v_dual_fmac_f32 v58, 0x3f167918, v41 :: v_dual_fmac_f32 v59, 0x3f167918, v40
	v_dual_fmac_f32 v95, 0xbf167918, v41 :: v_dual_fmac_f32 v60, 0xbf167918, v54
	;; [unrolled: 1-line block ×4, first 2 shown]
	v_fmac_f32_e32 v44, 0xbf737871, v77
	v_dual_fmac_f32 v58, 0x3e9e377a, v38 :: v_dual_fmac_f32 v59, 0x3e9e377a, v28
	v_dual_fmac_f32 v45, 0x3f167918, v30 :: v_dual_add_f32 v30, v33, v37
	v_fmamk_f32 v63, v90, 0x3f737871, v51
	v_fmac_f32_e32 v51, 0xbf737871, v90
	v_dual_add_f32 v33, v53, v76 :: v_dual_fmac_f32 v62, 0xbf167918, v90
	v_dual_fmac_f32 v95, 0x3e9e377a, v38 :: v_dual_fmac_f32 v50, 0x3e9e377a, v52
	v_fmac_f32_e32 v35, 0x3f167918, v78
	v_dual_fmac_f32 v43, 0xbf167918, v40 :: v_dual_fmac_f32 v44, 0xbf167918, v78
	s_delay_alu instid0(VALU_DEP_4) | instskip(SKIP_1) | instid1(VALU_DEP_4)
	v_fmac_f32_e32 v62, 0x3e9e377a, v57
	v_fmac_f32_e32 v51, 0x3f167918, v31
	;; [unrolled: 1-line block ×3, first 2 shown]
	v_dual_fmac_f32 v39, 0x3f167918, v77 :: v_dual_fmac_f32 v56, 0x3f167918, v90
	s_delay_alu instid0(VALU_DEP_4)
	v_mul_f32_e32 v40, 0x3f167918, v62
	v_dual_fmac_f32 v43, 0x3e9e377a, v28 :: v_dual_fmac_f32 v60, 0x3e9e377a, v42
	v_dual_fmac_f32 v45, 0x3e9e377a, v29 :: v_dual_add_f32 v28, v32, v30
	v_dual_fmac_f32 v63, 0xbf167918, v31 :: v_dual_sub_f32 v30, v32, v30
	v_mul_f32_e32 v32, 0x3e9e377a, v50
	v_fmac_f32_e32 v40, 0x3f4f1bbd, v35
	v_fmac_f32_e32 v47, 0x3f167918, v54
	;; [unrolled: 1-line block ×3, first 2 shown]
	v_dual_fmac_f32 v61, 0x3e9e377a, v29 :: v_dual_fmac_f32 v44, 0x3e9e377a, v46
	v_fmac_f32_e32 v56, 0x3e9e377a, v57
	v_sub_f32_e32 v31, v34, v33
	s_delay_alu instid0(VALU_DEP_4)
	v_fma_f32 v46, 0x3f737871, v51, -v32
	v_dual_add_f32 v32, v58, v40 :: v_dual_fmac_f32 v47, 0x3e9e377a, v42
	v_fmac_f32_e32 v63, 0x3e9e377a, v55
	v_mul_f32_e32 v36, 0x3f4f1bbd, v56
	v_sub_f32_e32 v40, v58, v40
	v_fmac_f32_e32 v39, 0x3e9e377a, v52
	v_dual_add_f32 v29, v34, v33 :: v_dual_mul_f32 v52, 0xbf167918, v35
	s_delay_alu instid0(VALU_DEP_4) | instskip(SKIP_1) | instid1(VALU_DEP_3)
	v_fma_f32 v54, 0xbf167918, v44, -v36
	v_dual_add_f32 v36, v43, v46 :: v_dual_mul_f32 v41, 0x3f737871, v63
	v_dual_mul_f32 v33, 0x3f4f1bbd, v44 :: v_dual_fmac_f32 v52, 0x3f4f1bbd, v62
	v_mul_f32_e32 v34, 0x3e9e377a, v51
	s_delay_alu instid0(VALU_DEP_3) | instskip(SKIP_1) | instid1(VALU_DEP_4)
	v_dual_sub_f32 v44, v43, v46 :: v_dual_fmac_f32 v41, 0x3e9e377a, v39
	v_mul_f32_e32 v53, 0xbf737871, v39
	v_fma_f32 v51, 0x3f167918, v56, -v33
	s_delay_alu instid0(VALU_DEP_4) | instskip(NEXT) | instid1(VALU_DEP_4)
	v_fma_f32 v50, 0xbf737871, v50, -v34
	v_dual_add_f32 v33, v60, v52 :: v_dual_sub_f32 v42, v59, v41
	s_delay_alu instid0(VALU_DEP_4) | instskip(NEXT) | instid1(VALU_DEP_3)
	v_dual_fmac_f32 v53, 0x3e9e377a, v63 :: v_dual_add_f32 v34, v59, v41
	v_dual_add_f32 v37, v45, v50 :: v_dual_add_f32 v38, v95, v51
	v_add_f32_e32 v39, v47, v54
	s_delay_alu instid0(VALU_DEP_3)
	v_dual_add_f32 v35, v61, v53 :: v_dual_sub_f32 v46, v95, v51
	v_sub_f32_e32 v41, v60, v52
	v_sub_f32_e32 v43, v61, v53
	;; [unrolled: 1-line block ×4, first 2 shown]
	ds_store_2addr_b64 v88, v[28:29], v[32:33] offset1:17
	ds_store_2addr_b64 v88, v[34:35], v[36:37] offset0:34 offset1:51
	ds_store_2addr_b64 v88, v[38:39], v[30:31] offset0:68 offset1:85
	ds_store_2addr_b64 v88, v[40:41], v[42:43] offset0:102 offset1:119
	ds_store_2addr_b64 v88, v[44:45], v[46:47] offset0:136 offset1:153
	global_wb scope:SCOPE_SE
	s_wait_dscnt 0x0
	s_barrier_signal -1
	s_barrier_wait -1
	global_inv scope:SCOPE_SE
	s_clause 0x4
	global_load_b128 v[40:43], v[48:49], off offset:1224
	global_load_b128 v[36:39], v[48:49], off offset:1240
	;; [unrolled: 1-line block ×4, first 2 shown]
	global_load_b64 v[69:70], v[48:49], off offset:1288
	ds_load_2addr_b64 v[44:47], v85 offset1:170
	ds_load_2addr_b64 v[48:51], v71 offset0:84 offset1:254
	ds_load_2addr_b64 v[52:55], v74 offset0:40 offset1:210
	;; [unrolled: 1-line block ×4, first 2 shown]
	s_wait_loadcnt_dscnt 0x403
	v_mul_f32_e32 v78, v48, v43
	s_wait_loadcnt_dscnt 0x302
	v_dual_mul_f32 v80, v50, v37 :: v_dual_mul_f32 v81, v53, v39
	s_wait_loadcnt_dscnt 0x201
	v_dual_mul_f32 v84, v54, v33 :: v_dual_mul_f32 v89, v57, v35
	;; [unrolled: 2-line block ×3, first 2 shown]
	v_dual_mul_f32 v76, v46, v41 :: v_dual_mul_f32 v77, v49, v43
	v_dual_mul_f32 v79, v51, v37 :: v_dual_fmac_f32 v78, v49, v42
	v_dual_mul_f32 v82, v52, v39 :: v_dual_mul_f32 v83, v55, v33
	v_dual_mul_f32 v90, v56, v35 :: v_dual_mul_f32 v91, v59, v29
	;; [unrolled: 1-line block ×3, first 2 shown]
	v_fmac_f32_e32 v80, v51, v36
	v_fma_f32 v49, v52, v38, -v81
	v_fmac_f32_e32 v84, v55, v32
	s_delay_alu instid0(VALU_DEP_4) | instskip(SKIP_4) | instid1(VALU_DEP_4)
	v_fmac_f32_e32 v92, v59, v28
	v_fma_f32 v51, v56, v34, -v89
	v_dual_mul_f32 v95, v63, v70 :: v_dual_mul_f32 v94, v60, v31
	v_fma_f32 v46, v46, v40, -v75
	v_fmac_f32_e32 v76, v47, v40
	v_add_f32_e32 v56, v49, v51
	v_fma_f32 v47, v48, v42, -v77
	v_fma_f32 v48, v50, v36, -v79
	v_fmac_f32_e32 v82, v53, v38
	v_fma_f32 v50, v54, v32, -v83
	v_fmac_f32_e32 v90, v57, v34
	v_fma_f32 v52, v58, v28, -v91
	v_fma_f32 v53, v60, v30, -v93
	;; [unrolled: 1-line block ×3, first 2 shown]
	v_dual_fmac_f32 v94, v61, v30 :: v_dual_add_f32 v55, v44, v47
	v_fmac_f32_e32 v96, v63, v69
	v_dual_sub_f32 v58, v82, v90 :: v_dual_sub_f32 v59, v47, v49
	v_dual_sub_f32 v60, v53, v51 :: v_dual_add_f32 v61, v47, v53
	v_dual_add_f32 v75, v45, v78 :: v_dual_sub_f32 v98, v84, v92
	v_dual_add_f32 v77, v82, v90 :: v_dual_add_f32 v104, v76, v80
	v_add_f32_e32 v93, v46, v48
	v_dual_sub_f32 v99, v48, v50 :: v_dual_sub_f32 v102, v50, v48
	v_dual_add_f32 v101, v48, v54 :: v_dual_sub_f32 v106, v50, v52
	v_dual_sub_f32 v48, v48, v54 :: v_dual_add_f32 v95, v50, v52
	s_delay_alu instid0(VALU_DEP_4)
	v_add_f32_e32 v50, v93, v50
	v_dual_sub_f32 v57, v78, v94 :: v_dual_sub_f32 v62, v49, v47
	v_sub_f32_e32 v63, v51, v53
	v_sub_f32_e32 v47, v47, v53
	v_dual_sub_f32 v79, v49, v51 :: v_dual_sub_f32 v100, v54, v52
	v_dual_sub_f32 v81, v78, v82 :: v_dual_sub_f32 v108, v96, v92
	v_sub_f32_e32 v83, v94, v90
	v_dual_add_f32 v89, v78, v94 :: v_dual_sub_f32 v110, v92, v96
	v_dual_sub_f32 v78, v82, v78 :: v_dual_sub_f32 v97, v80, v96
	v_add_f32_e32 v105, v84, v92
	v_add_f32_e32 v49, v55, v49
	v_fma_f32 v111, -0.5, v56, v44
	v_fma_f32 v56, -0.5, v61, v44
	v_add_f32_e32 v109, v80, v96
	v_sub_f32_e32 v107, v80, v84
	v_dual_sub_f32 v80, v84, v80 :: v_dual_sub_f32 v91, v90, v94
	v_add_f32_e32 v55, v59, v60
	v_dual_add_f32 v59, v75, v82 :: v_dual_add_f32 v50, v50, v52
	v_fma_f32 v75, -0.5, v77, v45
	v_fma_f32 v61, -0.5, v95, v46
	v_dual_fmac_f32 v46, -0.5, v101 :: v_dual_sub_f32 v103, v52, v54
	v_add_f32_e32 v44, v62, v63
	v_add_f32_e32 v62, v99, v100
	;; [unrolled: 1-line block ×3, first 2 shown]
	v_fma_f32 v77, -0.5, v89, v45
	v_dual_add_f32 v45, v78, v91 :: v_dual_add_f32 v78, v104, v84
	v_fma_f32 v81, -0.5, v105, v76
	v_dual_add_f32 v49, v49, v51 :: v_dual_fmamk_f32 v84, v58, 0xbf737871, v56
	v_dual_fmac_f32 v76, -0.5, v109 :: v_dual_add_f32 v51, v59, v90
	v_fmamk_f32 v52, v97, 0x3f737871, v61
	v_dual_fmamk_f32 v59, v47, 0xbf737871, v75 :: v_dual_fmamk_f32 v90, v98, 0xbf737871, v46
	v_dual_add_f32 v63, v102, v103 :: v_dual_fmac_f32 v56, 0x3f737871, v58
	v_dual_fmamk_f32 v83, v57, 0x3f737871, v111 :: v_dual_fmac_f32 v46, 0x3f737871, v98
	v_dual_fmac_f32 v111, 0xbf737871, v57 :: v_dual_add_f32 v78, v78, v92
	v_dual_fmac_f32 v75, 0x3f737871, v47 :: v_dual_fmamk_f32 v92, v106, 0x3f737871, v76
	v_fmac_f32_e32 v76, 0xbf737871, v106
	v_dual_add_f32 v51, v51, v94 :: v_dual_fmac_f32 v90, 0x3f167918, v97
	v_dual_fmac_f32 v59, 0xbf167918, v79 :: v_dual_fmac_f32 v46, 0xbf167918, v97
	v_dual_add_f32 v49, v49, v53 :: v_dual_fmac_f32 v52, 0x3f167918, v98
	v_fmamk_f32 v89, v79, 0x3f737871, v77
	v_dual_fmac_f32 v83, 0x3f167918, v58 :: v_dual_fmac_f32 v84, 0x3f167918, v57
	v_dual_fmac_f32 v111, 0xbf167918, v58 :: v_dual_fmac_f32 v56, 0xbf167918, v57
	;; [unrolled: 1-line block ×4, first 2 shown]
	v_dual_fmac_f32 v77, 0xbf737871, v79 :: v_dual_add_f32 v80, v80, v110
	v_dual_fmac_f32 v89, 0xbf167918, v47 :: v_dual_fmac_f32 v92, 0xbf167918, v48
	v_dual_add_f32 v53, v78, v96 :: v_dual_fmac_f32 v52, 0x3e9e377a, v62
	v_dual_fmac_f32 v83, 0x3e9e377a, v55 :: v_dual_fmac_f32 v56, 0x3e9e377a, v44
	v_fmamk_f32 v91, v48, 0xbf737871, v81
	v_dual_fmac_f32 v75, 0x3e9e377a, v60 :: v_dual_fmac_f32 v46, 0x3e9e377a, v63
	v_mul_f32_e32 v78, 0xbf737871, v90
	v_fmac_f32_e32 v77, 0x3f167918, v47
	v_dual_add_f32 v47, v50, v54 :: v_dual_fmac_f32 v84, 0x3e9e377a, v44
	v_dual_add_f32 v82, v107, v108 :: v_dual_fmac_f32 v61, 0xbf737871, v97
	v_fmac_f32_e32 v91, 0xbf167918, v106
	v_dual_fmac_f32 v111, 0x3e9e377a, v55 :: v_dual_fmac_f32 v92, 0x3e9e377a, v80
	v_dual_fmac_f32 v89, 0x3e9e377a, v45 :: v_dual_fmac_f32 v76, 0x3e9e377a, v80
	v_add_f32_e32 v44, v49, v47
	v_dual_sub_f32 v50, v49, v47 :: v_dual_mul_f32 v47, 0x3e9e377a, v46
	v_fmac_f32_e32 v61, 0xbf167918, v98
	v_fmac_f32_e32 v91, 0x3e9e377a, v82
	v_mul_f32_e32 v58, 0x3f737871, v92
	v_mul_f32_e32 v49, 0x3e9e377a, v76
	v_fma_f32 v76, 0x3f737871, v76, -v47
	v_dual_fmac_f32 v61, 0x3e9e377a, v62 :: v_dual_fmac_f32 v78, 0x3e9e377a, v92
	v_mul_f32_e32 v57, 0x3f167918, v91
	v_fmac_f32_e32 v58, 0x3e9e377a, v90
	v_fmac_f32_e32 v81, 0x3f737871, v48
	v_dual_add_f32 v54, v56, v76 :: v_dual_fmac_f32 v77, 0x3e9e377a, v45
	s_delay_alu instid0(VALU_DEP_4) | instskip(NEXT) | instid1(VALU_DEP_4)
	v_dual_mul_f32 v48, 0x3f4f1bbd, v61 :: v_dual_fmac_f32 v57, 0x3f4f1bbd, v52
	v_dual_mul_f32 v63, 0xbf167918, v52 :: v_dual_add_f32 v52, v84, v58
	s_delay_alu instid0(VALU_DEP_4) | instskip(SKIP_2) | instid1(VALU_DEP_3)
	v_dual_fmac_f32 v81, 0x3f167918, v106 :: v_dual_sub_f32 v56, v56, v76
	v_dual_add_f32 v45, v51, v53 :: v_dual_sub_f32 v62, v84, v58
	v_sub_f32_e32 v51, v51, v53
	v_fmac_f32_e32 v81, 0x3e9e377a, v82
	v_fma_f32 v80, 0xbf737871, v46, -v49
	v_add_f32_e32 v46, v83, v57
	v_sub_f32_e32 v60, v83, v57
	s_delay_alu instid0(VALU_DEP_4) | instskip(SKIP_3) | instid1(VALU_DEP_4)
	v_mul_f32_e32 v53, 0x3f4f1bbd, v81
	v_fma_f32 v79, 0x3f167918, v81, -v48
	v_add_f32_e32 v55, v77, v80
	v_sub_f32_e32 v57, v77, v80
	v_fma_f32 v81, 0xbf167918, v61, -v53
	s_delay_alu instid0(VALU_DEP_4) | instskip(SKIP_2) | instid1(VALU_DEP_4)
	v_sub_f32_e32 v58, v111, v79
	v_fmac_f32_e32 v63, 0x3f4f1bbd, v91
	v_dual_add_f32 v48, v111, v79 :: v_dual_add_f32 v53, v89, v78
	v_add_f32_e32 v49, v75, v81
	s_delay_alu instid0(VALU_DEP_3)
	v_add_f32_e32 v47, v59, v63
	v_sub_f32_e32 v61, v59, v63
	v_sub_f32_e32 v63, v89, v78
	;; [unrolled: 1-line block ×3, first 2 shown]
	ds_store_2addr_b64 v85, v[44:45], v[46:47] offset1:170
	ds_store_2addr_b64 v71, v[52:53], v[54:55] offset0:84 offset1:254
	ds_store_2addr_b64 v74, v[48:49], v[50:51] offset0:40 offset1:210
	;; [unrolled: 1-line block ×4, first 2 shown]
	global_wb scope:SCOPE_SE
	s_wait_dscnt 0x0
	s_barrier_signal -1
	s_barrier_wait -1
	global_inv scope:SCOPE_SE
	s_and_saveexec_b32 s6, vcc_lo
	s_cbranch_execz .LBB0_9
; %bb.8:
	s_add_nc_u64 s[4:5], s[8:9], 0x3520
	s_clause 0x10
	global_load_b64 v[77:78], v85, s[8:9] offset:13600
	global_load_b64 v[79:80], v85, s[4:5] offset:800
	;; [unrolled: 1-line block ×17, first 2 shown]
	ds_load_2addr_b64 v[73:76], v85 offset1:100
	s_wait_loadcnt_dscnt 0x1000
	v_dual_mul_f32 v82, v74, v78 :: v_dual_add_nc_u32 v139, 0x400, v85
	s_wait_loadcnt 0xf
	v_mul_f32_e32 v83, v76, v80
	v_dual_mul_f32 v81, v73, v78 :: v_dual_mul_f32 v78, v75, v80
	s_delay_alu instid0(VALU_DEP_3) | instskip(NEXT) | instid1(VALU_DEP_2)
	v_fma_f32 v80, v73, v77, -v82
	v_dual_fmac_f32 v81, v74, v77 :: v_dual_fmac_f32 v78, v76, v79
	s_delay_alu instid0(VALU_DEP_4)
	v_fma_f32 v77, v75, v79, -v83
	ds_store_2addr_b64 v85, v[80:81], v[77:78] offset1:100
	ds_load_2addr_b64 v[73:76], v139 offset0:72 offset1:172
	ds_load_2addr_b64 v[77:80], v71 offset0:144 offset1:244
	v_add_nc_u32_e32 v140, 0x1000, v85
	v_add_nc_u32_e32 v141, 0x1800, v85
	;; [unrolled: 1-line block ×4, first 2 shown]
	s_wait_loadcnt_dscnt 0xe01
	v_mul_f32_e32 v137, v74, v106
	ds_load_2addr_b64 v[81:84], v140 offset0:88 offset1:188
	v_mul_f32_e32 v138, v73, v106
	s_wait_loadcnt 0xd
	v_mul_f32_e32 v106, v75, v108
	s_wait_loadcnt_dscnt 0xc01
	v_dual_mul_f32 v144, v76, v108 :: v_dual_mul_f32 v145, v78, v110
	ds_load_2addr_b64 v[89:92], v141 offset0:32 offset1:132
	ds_load_2addr_b64 v[93:96], v142 offset0:104 offset1:204
	;; [unrolled: 1-line block ×4, first 2 shown]
	ds_load_b64 v[135:136], v85 offset:12800
	v_mul_f32_e32 v108, v77, v110
	s_wait_loadcnt 0xb
	v_mul_f32_e32 v146, v80, v112
	v_mul_f32_e32 v110, v79, v112
	v_fma_f32 v137, v73, v105, -v137
	v_fmac_f32_e32 v138, v74, v105
	v_fma_f32 v105, v75, v107, -v144
	v_fmac_f32_e32 v106, v76, v107
	;; [unrolled: 2-line block ×3, first 2 shown]
	s_wait_loadcnt_dscnt 0xa05
	v_mul_f32_e32 v147, v82, v114
	s_wait_loadcnt_dscnt 0x804
	v_mul_f32_e32 v149, v90, v118
	v_mul_f32_e32 v112, v81, v114
	s_wait_loadcnt_dscnt 0x603
	v_dual_mul_f32 v148, v84, v116 :: v_dual_mul_f32 v151, v94, v122
	s_wait_loadcnt_dscnt 0x402
	v_dual_mul_f32 v114, v83, v116 :: v_dual_mul_f32 v153, v98, v126
	v_mul_f32_e32 v116, v89, v118
	s_wait_loadcnt_dscnt 0x201
	v_dual_mul_f32 v150, v92, v120 :: v_dual_mul_f32 v155, v102, v130
	s_wait_loadcnt_dscnt 0x0
	v_dual_mul_f32 v118, v91, v120 :: v_dual_mul_f32 v157, v136, v134
	v_mul_f32_e32 v120, v93, v122
	v_mul_f32_e32 v152, v96, v124
	;; [unrolled: 1-line block ×10, first 2 shown]
	v_fma_f32 v109, v79, v111, -v146
	v_fmac_f32_e32 v110, v80, v111
	v_fma_f32 v111, v81, v113, -v147
	v_fmac_f32_e32 v112, v82, v113
	;; [unrolled: 2-line block ×12, first 2 shown]
	ds_store_2addr_b64 v139, v[137:138], v[105:106] offset0:72 offset1:172
	ds_store_2addr_b64 v71, v[107:108], v[109:110] offset0:144 offset1:244
	;; [unrolled: 1-line block ×7, first 2 shown]
	ds_store_b64 v85, v[131:132] offset:12800
.LBB0_9:
	s_wait_alu 0xfffe
	s_or_b32 exec_lo, exec_lo, s6
	global_wb scope:SCOPE_SE
	s_wait_dscnt 0x0
	s_barrier_signal -1
	s_barrier_wait -1
	global_inv scope:SCOPE_SE
	s_and_saveexec_b32 s4, vcc_lo
	s_cbranch_execz .LBB0_11
; %bb.10:
	v_add_nc_u32_e32 v0, 0x400, v85
	v_add_nc_u32_e32 v1, 0x800, v85
	;; [unrolled: 1-line block ×3, first 2 shown]
	ds_load_2addr_b64 v[44:47], v85 offset1:100
	v_add_nc_u32_e32 v3, 0x2400, v85
	ds_load_2addr_b64 v[52:55], v0 offset0:72 offset1:172
	ds_load_2addr_b64 v[48:51], v1 offset0:144 offset1:244
	v_add_nc_u32_e32 v0, 0x1800, v85
	v_add_nc_u32_e32 v1, 0x1c00, v85
	;; [unrolled: 1-line block ×3, first 2 shown]
	ds_load_2addr_b64 v[60:63], v2 offset0:88 offset1:188
	ds_load_2addr_b64 v[56:59], v0 offset0:32 offset1:132
	;; [unrolled: 1-line block ×5, first 2 shown]
	ds_load_b64 v[65:66], v85 offset:12800
.LBB0_11:
	s_wait_alu 0xfffe
	s_or_b32 exec_lo, exec_lo, s4
	global_wb scope:SCOPE_SE
	s_wait_dscnt 0x0
	s_barrier_signal -1
	s_barrier_wait -1
	global_inv scope:SCOPE_SE
	s_and_saveexec_b32 s4, vcc_lo
	s_cbranch_execz .LBB0_13
; %bb.12:
	v_dual_add_f32 v84, v66, v47 :: v_dual_add_f32 v201, v7, v49
	v_dual_sub_f32 v94, v46, v65 :: v_dual_sub_f32 v89, v48, v6
	v_dual_add_f32 v208, v3, v53 :: v_dual_sub_f32 v91, v54, v0
	v_dual_add_f32 v206, v1, v55 :: v_dual_add_f32 v83, v11, v61
	s_delay_alu instid0(VALU_DEP_4) | instskip(SKIP_1) | instid1(VALU_DEP_4)
	v_mul_f32_e32 v108, 0xbf7ba420, v84
	v_sub_f32_e32 v90, v52, v2
	v_dual_mul_f32 v110, 0x3f6eb680, v208 :: v_dual_sub_f32 v93, v60, v10
	s_delay_alu instid0(VALU_DEP_4) | instskip(NEXT) | instid1(VALU_DEP_4)
	v_dual_add_f32 v202, v5, v51 :: v_dual_mul_f32 v111, 0xbf59a7d5, v206
	v_fmamk_f32 v71, v94, 0x3e3c28d5, v108
	v_sub_f32_e32 v92, v50, v4
	v_dual_sub_f32 v168, v47, v66 :: v_dual_sub_f32 v169, v53, v3
	s_delay_alu instid0(VALU_DEP_4) | instskip(NEXT) | instid1(VALU_DEP_4)
	v_fmamk_f32 v73, v91, 0x3f06c442, v111
	v_dual_fmamk_f32 v72, v90, 0xbeb8f4ab, v110 :: v_dual_add_f32 v71, v45, v71
	v_mul_f32_e32 v112, 0x3f3d2fb0, v201
	v_dual_mul_f32 v117, 0xbf1a4643, v202 :: v_dual_sub_f32 v188, v49, v7
	s_delay_alu instid0(VALU_DEP_3) | instskip(NEXT) | instid1(VALU_DEP_3)
	v_dual_add_f32 v96, v65, v46 :: v_dual_add_f32 v71, v72, v71
	v_dual_fmamk_f32 v72, v89, 0xbf2c7751, v112 :: v_dual_add_f32 v97, v2, v52
	v_dual_mul_f32 v114, 0x3ee437d1, v83 :: v_dual_sub_f32 v181, v55, v1
	s_delay_alu instid0(VALU_DEP_3) | instskip(SKIP_2) | instid1(VALU_DEP_3)
	v_dual_add_f32 v71, v73, v71 :: v_dual_mul_f32 v116, 0xbe3c28d5, v168
	v_fmamk_f32 v73, v92, 0x3f4c4adb, v117
	v_dual_add_f32 v191, v9, v63 :: v_dual_add_f32 v100, v6, v48
	v_add_f32_e32 v71, v72, v71
	s_delay_alu instid0(VALU_DEP_4) | instskip(SKIP_1) | instid1(VALU_DEP_4)
	v_fmamk_f32 v74, v96, 0xbf7ba420, v116
	v_dual_fmamk_f32 v72, v93, 0xbf65296c, v114 :: v_dual_add_f32 v99, v0, v54
	v_dual_mul_f32 v113, 0xbe8c1d8e, v191 :: v_dual_sub_f32 v98, v56, v58
	s_delay_alu instid0(VALU_DEP_4) | instskip(NEXT) | instid1(VALU_DEP_4)
	v_add_f32_e32 v71, v73, v71
	v_dual_mul_f32 v115, 0x3eb8f4ab, v169 :: v_dual_add_f32 v74, v44, v74
	v_add_f32_e32 v194, v59, v57
	v_sub_f32_e32 v189, v51, v5
	v_mul_f32_e32 v135, 0xbf59a7d5, v84
	s_delay_alu instid0(VALU_DEP_4) | instskip(NEXT) | instid1(VALU_DEP_4)
	v_fmamk_f32 v73, v97, 0x3f6eb680, v115
	v_dual_add_f32 v71, v72, v71 :: v_dual_mul_f32 v120, 0x3dbcf732, v194
	s_delay_alu instid0(VALU_DEP_4) | instskip(NEXT) | instid1(VALU_DEP_3)
	v_dual_sub_f32 v95, v62, v8 :: v_dual_mul_f32 v106, 0xbf4c4adb, v189
	v_dual_add_f32 v72, v73, v74 :: v_dual_mul_f32 v109, 0xbf06c442, v181
	s_delay_alu instid0(VALU_DEP_2) | instskip(SKIP_1) | instid1(VALU_DEP_3)
	v_dual_add_f32 v101, v4, v50 :: v_dual_fmamk_f32 v74, v95, 0x3f763a35, v113
	v_dual_sub_f32 v185, v61, v11 :: v_dual_mul_f32 v122, 0x3dbcf732, v206
	v_dual_fmamk_f32 v73, v99, 0xbf59a7d5, v109 :: v_dual_add_f32 v102, v10, v60
	s_delay_alu instid0(VALU_DEP_3) | instskip(SKIP_2) | instid1(VALU_DEP_4)
	v_add_f32_e32 v71, v74, v71
	v_fmamk_f32 v74, v98, 0xbf7ee86f, v120
	v_mul_f32_e32 v105, 0x3f2c7751, v188
	v_add_f32_e32 v72, v73, v72
	v_sub_f32_e32 v192, v63, v9
	v_dual_mul_f32 v107, 0x3f65296c, v185 :: v_dual_add_f32 v104, v8, v62
	s_delay_alu instid0(VALU_DEP_4) | instskip(NEXT) | instid1(VALU_DEP_3)
	v_fmamk_f32 v73, v100, 0x3f3d2fb0, v105
	v_dual_sub_f32 v193, v57, v59 :: v_dual_mul_f32 v118, 0xbf763a35, v192
	v_mul_f32_e32 v140, 0x3f65296c, v169
	s_delay_alu instid0(VALU_DEP_3)
	v_dual_fmamk_f32 v75, v102, 0x3ee437d1, v107 :: v_dual_add_f32 v72, v73, v72
	v_fmamk_f32 v73, v101, 0xbf1a4643, v106
	v_mul_f32_e32 v154, 0x3f7ee86f, v189
	v_mul_f32_e32 v125, 0x3dbcf732, v202
	v_fmamk_f32 v76, v94, 0x3f06c442, v135
	v_dual_mul_f32 v126, 0xbf1a4643, v201 :: v_dual_add_f32 v103, v58, v56
	v_dual_add_f32 v73, v73, v72 :: v_dual_add_f32 v72, v74, v71
	v_mul_f32_e32 v119, 0x3f7ee86f, v193
	v_dual_mul_f32 v141, 0xbf7ee86f, v181 :: v_dual_fmamk_f32 v78, v92, 0xbf7ee86f, v125
	v_mul_f32_e32 v121, 0x3ee437d1, v208
	s_delay_alu instid0(VALU_DEP_4) | instskip(SKIP_2) | instid1(VALU_DEP_4)
	v_add_f32_e32 v71, v75, v73
	v_dual_fmamk_f32 v75, v104, 0xbe8c1d8e, v118 :: v_dual_mul_f32 v134, 0xbe8c1d8e, v208
	v_mul_f32_e32 v139, 0xbf06c442, v168
	v_fmamk_f32 v74, v90, 0xbf65296c, v121
	v_dual_mul_f32 v161, 0xbe3c28d5, v185 :: v_dual_mul_f32 v156, 0xbe3c28d5, v192
	v_mul_f32_e32 v133, 0xbf7ba420, v83
	v_add_f32_e32 v71, v75, v71
	v_fmamk_f32 v75, v103, 0x3dbcf732, v119
	v_dual_add_f32 v73, v45, v76 :: v_dual_mul_f32 v124, 0xbf59a7d5, v201
	v_mul_f32_e32 v144, 0x3f4c4adb, v188
	v_mul_f32_e32 v137, 0xbf1a4643, v84
	s_delay_alu instid0(VALU_DEP_4) | instskip(SKIP_4) | instid1(VALU_DEP_4)
	v_add_f32_e32 v71, v75, v71
	v_fmamk_f32 v75, v96, 0xbf59a7d5, v139
	v_dual_add_f32 v73, v74, v73 :: v_dual_fmamk_f32 v74, v91, 0x3f7ee86f, v122
	v_mul_f32_e32 v160, 0xbeb8f4ab, v189
	v_mul_f32_e32 v127, 0x3f6eb680, v202
	v_dual_add_f32 v75, v44, v75 :: v_dual_fmamk_f32 v76, v97, 0x3ee437d1, v140
	v_mul_f32_e32 v178, 0x3f06c442, v169
	v_mul_f32_e32 v136, 0xbf763a35, v193
	;; [unrolled: 1-line block ×4, first 2 shown]
	v_dual_add_f32 v75, v76, v75 :: v_dual_fmamk_f32 v76, v99, 0x3dbcf732, v141
	v_fmamk_f32 v80, v97, 0xbf59a7d5, v178
	v_mul_f32_e32 v149, 0x3f2c7751, v192
	v_mul_f32_e32 v129, 0xbe8c1d8e, v194
	s_delay_alu instid0(VALU_DEP_4) | instskip(SKIP_3) | instid1(VALU_DEP_3)
	v_dual_mul_f32 v142, 0xbeb8f4ab, v181 :: v_dual_add_f32 v75, v76, v75
	v_fmamk_f32 v76, v100, 0xbf1a4643, v144
	v_dual_fmamk_f32 v77, v90, 0xbf763a35, v134 :: v_dual_mul_f32 v176, 0xbf763a35, v168
	v_mul_f32_e32 v123, 0x3f6eb680, v206
	v_dual_mul_f32 v170, 0x3ee437d1, v202 :: v_dual_add_f32 v75, v76, v75
	v_dual_fmamk_f32 v76, v101, 0x3f6eb680, v160 :: v_dual_add_f32 v73, v74, v73
	v_fmamk_f32 v74, v89, 0xbf4c4adb, v126
	v_mul_f32_e32 v130, 0x3f3d2fb0, v83
	v_dual_mul_f32 v143, 0xbf06c442, v188 :: v_dual_mul_f32 v220, 0xbf06c442, v185
	s_delay_alu instid0(VALU_DEP_4) | instskip(NEXT) | instid1(VALU_DEP_4)
	v_add_f32_e32 v75, v76, v75
	v_dual_add_f32 v73, v74, v73 :: v_dual_fmamk_f32 v74, v92, 0x3eb8f4ab, v127
	v_fmamk_f32 v76, v102, 0xbf7ba420, v161
	v_dual_mul_f32 v145, 0x3f65296c, v193 :: v_dual_fmamk_f32 v82, v92, 0x3f65296c, v170
	s_delay_alu instid0(VALU_DEP_3) | instskip(NEXT) | instid1(VALU_DEP_3)
	v_dual_mul_f32 v166, 0x3f3d2fb0, v202 :: v_dual_add_f32 v73, v74, v73
	v_dual_fmamk_f32 v74, v93, 0x3e3c28d5, v133 :: v_dual_add_f32 v75, v76, v75
	v_fmamk_f32 v76, v104, 0x3f3d2fb0, v149
	v_mul_f32_e32 v132, 0x3ee437d1, v194
	v_mul_f32_e32 v155, 0xbf2c7751, v185
	s_delay_alu instid0(VALU_DEP_4) | instskip(NEXT) | instid1(VALU_DEP_4)
	v_dual_add_f32 v73, v74, v73 :: v_dual_fmamk_f32 v74, v95, 0xbf2c7751, v128
	v_dual_add_f32 v75, v76, v75 :: v_dual_mul_f32 v172, 0xbf59a7d5, v208
	v_fmamk_f32 v76, v103, 0xbe8c1d8e, v136
	v_mul_f32_e32 v131, 0xbf7ba420, v191
	s_delay_alu instid0(VALU_DEP_4) | instskip(SKIP_3) | instid1(VALU_DEP_3)
	v_add_f32_e32 v73, v74, v73
	v_dual_fmamk_f32 v74, v98, 0x3f763a35, v129 :: v_dual_mul_f32 v203, 0x3f763a35, v181
	v_mul_f32_e32 v171, 0xbe8c1d8e, v84
	v_dual_mul_f32 v213, 0xbf4c4adb, v169 :: v_dual_add_f32 v46, v46, v44
	v_add_f32_e32 v74, v74, v73
	v_fmamk_f32 v73, v94, 0x3f4c4adb, v137
	s_delay_alu instid0(VALU_DEP_3) | instskip(SKIP_2) | instid1(VALU_DEP_4)
	v_dual_mul_f32 v179, 0xbf1a4643, v191 :: v_dual_fmamk_f32 v196, v97, 0xbf1a4643, v213
	v_fmamk_f32 v79, v90, 0xbf06c442, v172
	v_mul_f32_e32 v195, 0x3f2c7751, v193
	v_add_f32_e32 v73, v45, v73
	v_mul_f32_e32 v173, 0x3f3d2fb0, v206
	v_mul_f32_e32 v174, 0x3ee437d1, v201
	;; [unrolled: 1-line block ×3, first 2 shown]
	s_delay_alu instid0(VALU_DEP_4)
	v_dual_mul_f32 v138, 0xbf65296c, v188 :: v_dual_add_f32 v73, v77, v73
	v_fmamk_f32 v77, v91, 0x3eb8f4ab, v123
	v_mul_f32_e32 v200, 0xbe3c28d5, v169
	v_mul_f32_e32 v175, 0xbf7ba420, v202
	;; [unrolled: 1-line block ×4, first 2 shown]
	v_add_f32_e32 v73, v77, v73
	v_fmamk_f32 v77, v89, 0x3f06c442, v124
	v_mul_f32_e32 v157, 0x3f6eb680, v191
	v_mul_f32_e32 v158, 0xbf1a4643, v194
	v_fmamk_f32 v197, v100, 0xbe8c1d8e, v205
	v_mul_f32_e32 v177, 0x3dbcf732, v83
	v_add_f32_e32 v77, v77, v73
	v_dual_add_f32 v73, v76, v75 :: v_dual_mul_f32 v162, 0xbf7ba420, v208
	v_dual_mul_f32 v167, 0x3f6eb680, v201 :: v_dual_mul_f32 v182, 0x3f6eb680, v83
	s_delay_alu instid0(VALU_DEP_3)
	v_dual_add_f32 v76, v78, v77 :: v_dual_fmamk_f32 v77, v93, 0x3f2c7751, v130
	v_mul_f32_e32 v152, 0xbf4c4adb, v193
	v_fmamk_f32 v78, v97, 0xbe8c1d8e, v153
	v_mul_f32_e32 v159, 0x3f2c7751, v181
	v_mul_f32_e32 v164, 0xbf7ba420, v206
	v_dual_add_f32 v76, v77, v76 :: v_dual_fmamk_f32 v77, v95, 0x3e3c28d5, v131
	v_mul_f32_e32 v204, 0x3e3c28d5, v181
	v_mul_f32_e32 v147, 0xbe3c28d5, v189
	v_fmamk_f32 v81, v100, 0x3ee437d1, v138
	s_delay_alu instid0(VALU_DEP_4) | instskip(SKIP_4) | instid1(VALU_DEP_4)
	v_dual_mul_f32 v183, 0x3dbcf732, v191 :: v_dual_add_f32 v76, v77, v76
	v_fmamk_f32 v77, v98, 0xbf65296c, v132
	v_mul_f32_e32 v186, 0xbf59a7d5, v83
	v_dual_mul_f32 v163, 0xbe8c1d8e, v206 :: v_dual_mul_f32 v230, 0xbe8c1d8e, v83
	v_dual_mul_f32 v187, 0xbf1a4643, v208 :: v_dual_mul_f32 v226, 0xbf1a4643, v206
	v_dual_add_f32 v76, v77, v76 :: v_dual_fmamk_f32 v77, v94, 0x3f763a35, v171
	v_dual_mul_f32 v217, 0x3ee437d1, v191 :: v_dual_mul_f32 v198, 0x3ee437d1, v84
	v_mul_f32_e32 v211, 0x3f4c4adb, v192
	v_mul_f32_e32 v199, 0xbf7ee86f, v168
	s_delay_alu instid0(VALU_DEP_3) | instskip(SKIP_2) | instid1(VALU_DEP_3)
	v_dual_add_f32 v77, v45, v77 :: v_dual_fmamk_f32 v222, v95, 0xbf65296c, v217
	v_mul_f32_e32 v165, 0xbe8c1d8e, v201
	v_mul_f32_e32 v228, 0xbf59a7d5, v202
	v_dual_mul_f32 v202, 0xbe8c1d8e, v202 :: v_dual_add_f32 v77, v79, v77
	v_fmamk_f32 v79, v91, 0xbf2c7751, v173
	v_mul_f32_e32 v214, 0x3f2c7751, v189
	v_add_f32_e32 v47, v47, v45
	v_fmac_f32_e32 v112, 0x3f2c7751, v89
	v_fmac_f32_e32 v114, 0x3f65296c, v93
	v_add_f32_e32 v77, v79, v77
	v_fmamk_f32 v79, v89, 0x3f65296c, v174
	v_add_f32_e32 v47, v53, v47
	v_mul_f32_e32 v229, 0xbf2c7751, v168
	v_mul_f32_e32 v215, 0xbeb8f4ab, v185
	;; [unrolled: 1-line block ×3, first 2 shown]
	v_add_f32_e32 v77, v79, v77
	v_fmamk_f32 v79, v92, 0x3e3c28d5, v175
	v_add_f32_e32 v47, v55, v47
	v_mul_f32_e32 v231, 0xbf7ee86f, v169
	v_fmac_f32_e32 v111, 0xbf06c442, v91
	v_fmac_f32_e32 v133, 0xbe3c28d5, v93
	v_add_f32_e32 v77, v79, v77
	v_fmamk_f32 v79, v93, 0xbf7ee86f, v177
	v_add_f32_e32 v47, v49, v47
	v_fmac_f32_e32 v137, 0xbf4c4adb, v94
	v_mul_f32_e32 v190, 0x3dbcf732, v84
	v_fmac_f32_e32 v113, 0xbf763a35, v95
	v_add_f32_e32 v77, v79, v77
	v_fmamk_f32 v79, v95, 0x3eb8f4ab, v157
	v_add_f32_e32 v47, v51, v47
	v_mul_f32_e32 v51, 0xbf2c7751, v169
	v_fmac_f32_e32 v129, 0xbf763a35, v98
	s_delay_alu instid0(VALU_DEP_4)
	v_dual_fmac_f32 v134, 0x3f763a35, v90 :: v_dual_add_f32 v77, v79, v77
	v_fmamk_f32 v79, v98, 0x3f4c4adb, v158
	v_mul_f32_e32 v151, 0xbf4c4adb, v168
	v_mul_f32_e32 v150, 0xbeb8f4ab, v192
	v_fmac_f32_e32 v135, 0xbf06c442, v94
	v_fmac_f32_e32 v127, 0xbeb8f4ab, v92
	v_mul_f32_e32 v180, 0x3f3d2fb0, v194
	v_fmamk_f32 v75, v96, 0xbf1a4643, v151
	v_fmamk_f32 v146, v90, 0x3f4c4adb, v187
	v_fmac_f32_e32 v187, 0xbf4c4adb, v90
	v_mul_f32_e32 v218, 0xbf65296c, v189
	v_add_f32_e32 v46, v52, v46
	v_dual_add_f32 v75, v44, v75 :: v_dual_mul_f32 v184, 0xbf59a7d5, v194
	v_mul_f32_e32 v212, 0xbf65296c, v168
	v_mul_f32_e32 v216, 0xbf7ee86f, v192
	s_delay_alu instid0(VALU_DEP_4) | instskip(NEXT) | instid1(VALU_DEP_4)
	v_add_f32_e32 v46, v54, v46
	v_dual_add_f32 v75, v78, v75 :: v_dual_fmamk_f32 v78, v99, 0x3f6eb680, v142
	v_mul_f32_e32 v225, 0x3dbcf732, v208
	v_mul_f32_e32 v224, 0x3f3d2fb0, v84
	s_delay_alu instid0(VALU_DEP_4) | instskip(NEXT) | instid1(VALU_DEP_4)
	v_add_f32_e32 v46, v48, v46
	v_dual_mul_f32 v48, 0xbf7ba420, v194 :: v_dual_add_f32 v75, v78, v75
	v_fmamk_f32 v78, v100, 0xbf59a7d5, v143
	v_fmamk_f32 v210, v92, 0xbf06c442, v228
	s_delay_alu instid0(VALU_DEP_4)
	v_add_f32_e32 v46, v50, v46
	v_fmamk_f32 v50, v97, 0x3f3d2fb0, v51
	v_mul_f32_e32 v209, 0xbf06c442, v193
	v_dual_add_f32 v75, v78, v75 :: v_dual_fmamk_f32 v78, v101, 0x3dbcf732, v154
	v_fmac_f32_e32 v125, 0x3f7ee86f, v92
	v_fmac_f32_e32 v123, 0xbeb8f4ab, v91
	;; [unrolled: 1-line block ×3, first 2 shown]
	s_delay_alu instid0(VALU_DEP_4) | instskip(SKIP_2) | instid1(VALU_DEP_3)
	v_dual_add_f32 v46, v60, v46 :: v_dual_add_f32 v75, v78, v75
	v_fmamk_f32 v78, v102, 0x3f3d2fb0, v155
	v_mul_f32_e32 v60, 0xbf7ee86f, v188
	v_dual_fmamk_f32 v221, v97, 0x3dbcf732, v231 :: v_dual_add_f32 v46, v62, v46
	v_fma_f32 v62, 0xbf1a4643, v97, -v213
	s_delay_alu instid0(VALU_DEP_4) | instskip(NEXT) | instid1(VALU_DEP_3)
	v_dual_add_f32 v75, v78, v75 :: v_dual_fmamk_f32 v78, v104, 0xbf7ba420, v156
	v_dual_fmac_f32 v131, 0xbe3c28d5, v95 :: v_dual_add_f32 v46, v56, v46
	v_mul_f32_e32 v56, 0xbf763a35, v189
	s_delay_alu instid0(VALU_DEP_3) | instskip(SKIP_1) | instid1(VALU_DEP_4)
	v_dual_fmac_f32 v120, 0x3f7ee86f, v98 :: v_dual_add_f32 v75, v78, v75
	v_fmamk_f32 v78, v103, 0x3ee437d1, v145
	v_add_f32_e32 v46, v58, v46
	v_dual_mul_f32 v58, 0xbe3c28d5, v193 :: v_dual_add_f32 v47, v61, v47
	v_mul_f32_e32 v52, 0xbf59a7d5, v191
	s_delay_alu instid0(VALU_DEP_4) | instskip(NEXT) | instid1(VALU_DEP_3)
	v_dual_add_f32 v75, v78, v75 :: v_dual_fmamk_f32 v78, v96, 0xbe8c1d8e, v176
	v_dual_add_f32 v8, v8, v46 :: v_dual_add_f32 v47, v63, v47
	v_mul_f32_e32 v168, 0xbeb8f4ab, v168
	v_fmac_f32_e32 v110, 0x3eb8f4ab, v90
	s_delay_alu instid0(VALU_DEP_4) | instskip(NEXT) | instid1(VALU_DEP_4)
	v_add_f32_e32 v78, v44, v78
	v_dual_add_f32 v8, v10, v8 :: v_dual_add_f32 v47, v57, v47
	v_fmamk_f32 v54, v95, 0x3f06c442, v52
	v_fmac_f32_e32 v108, 0xbe3c28d5, v94
	s_delay_alu instid0(VALU_DEP_4) | instskip(SKIP_4) | instid1(VALU_DEP_4)
	v_add_f32_e32 v78, v80, v78
	v_fmamk_f32 v80, v99, 0x3f3d2fb0, v159
	v_dual_add_f32 v59, v59, v47 :: v_dual_add_f32 v4, v4, v8
	v_fmac_f32_e32 v126, 0x3f4c4adb, v89
	v_fmac_f32_e32 v128, 0x3f2c7751, v95
	v_add_f32_e32 v80, v80, v78
	v_dual_add_f32 v78, v79, v77 :: v_dual_fmamk_f32 v77, v94, 0x3f7ee86f, v190
	v_dual_add_f32 v9, v9, v59 :: v_dual_add_f32 v4, v6, v4
	s_delay_alu instid0(VALU_DEP_3) | instskip(SKIP_1) | instid1(VALU_DEP_4)
	v_add_f32_e32 v79, v81, v80
	v_fmamk_f32 v80, v101, 0xbf7ba420, v147
	v_add_f32_e32 v77, v45, v77
	v_fmamk_f32 v81, v90, 0x3e3c28d5, v162
	v_add_f32_e32 v9, v11, v9
	v_add_f32_e32 v11, v45, v108
	v_dual_add_f32 v79, v80, v79 :: v_dual_fmamk_f32 v80, v102, 0x3dbcf732, v148
	s_delay_alu instid0(VALU_DEP_4) | instskip(SKIP_4) | instid1(VALU_DEP_4)
	v_add_f32_e32 v77, v81, v77
	v_fmamk_f32 v81, v91, 0xbf763a35, v163
	v_add_f32_e32 v5, v5, v9
	v_add_f32_e32 v9, v110, v11
	;; [unrolled: 1-line block ×3, first 2 shown]
	v_dual_fmamk_f32 v80, v104, 0x3f6eb680, v150 :: v_dual_add_f32 v77, v81, v77
	v_fmamk_f32 v81, v89, 0xbeb8f4ab, v167
	v_add_f32_e32 v5, v7, v5
	v_dual_mul_f32 v53, 0xbf1a4643, v83 :: v_dual_add_f32 v0, v0, v4
	s_delay_alu instid0(VALU_DEP_4) | instskip(NEXT) | instid1(VALU_DEP_4)
	v_dual_add_f32 v79, v80, v79 :: v_dual_fmamk_f32 v80, v103, 0xbf1a4643, v152
	v_add_f32_e32 v81, v81, v77
	v_add_f32_e32 v7, v111, v9
	;; [unrolled: 1-line block ×3, first 2 shown]
	v_fmac_f32_e32 v117, 0xbf4c4adb, v92
	s_delay_alu instid0(VALU_DEP_4)
	v_dual_add_f32 v77, v80, v79 :: v_dual_add_f32 v80, v82, v81
	v_fmamk_f32 v81, v93, 0x3f06c442, v186
	v_fmamk_f32 v79, v96, 0x3dbcf732, v199
	v_add_f32_e32 v5, v112, v7
	v_fmamk_f32 v7, v103, 0xbf7ba420, v58
	v_fmamk_f32 v55, v93, 0x3f4c4adb, v53
	v_dual_add_f32 v80, v81, v80 :: v_dual_fmamk_f32 v81, v95, 0xbf4c4adb, v179
	v_dual_add_f32 v79, v44, v79 :: v_dual_fmamk_f32 v82, v97, 0xbf7ba420, v200
	v_add_f32_e32 v1, v3, v1
	v_fma_f32 v4, 0xbf7ba420, v96, -v116
	s_delay_alu instid0(VALU_DEP_4) | instskip(NEXT) | instid1(VALU_DEP_4)
	v_dual_add_f32 v80, v81, v80 :: v_dual_fmamk_f32 v81, v98, 0xbf2c7751, v180
	v_dual_add_f32 v79, v82, v79 :: v_dual_fmamk_f32 v82, v99, 0xbe8c1d8e, v203
	v_fmac_f32_e32 v167, 0x3eb8f4ab, v89
	s_delay_alu instid0(VALU_DEP_3) | instskip(SKIP_4) | instid1(VALU_DEP_4)
	v_dual_fmac_f32 v179, 0x3f4c4adb, v95 :: v_dual_add_f32 v80, v81, v80
	v_fmamk_f32 v81, v94, 0x3f65296c, v198
	v_fma_f32 v59, 0xbf59a7d5, v102, -v220
	v_fmac_f32_e32 v53, 0xbf4c4adb, v93
	v_dual_add_f32 v3, v117, v5 :: v_dual_add_f32 v0, v2, v0
	v_add_f32_e32 v81, v45, v81
	v_fma_f32 v5, 0xbf59a7d5, v99, -v109
	v_fmac_f32_e32 v122, 0xbf7ee86f, v91
	s_delay_alu instid0(VALU_DEP_4) | instskip(NEXT) | instid1(VALU_DEP_4)
	v_dual_add_f32 v2, v114, v3 :: v_dual_add_f32 v3, v44, v4
	v_dual_add_f32 v81, v146, v81 :: v_dual_fmamk_f32 v146, v91, 0xbe3c28d5, v164
	v_fma_f32 v4, 0x3f6eb680, v97, -v115
	s_delay_alu instid0(VALU_DEP_3) | instskip(NEXT) | instid1(VALU_DEP_3)
	v_dual_add_f32 v2, v113, v2 :: v_dual_fmamk_f32 v57, v98, 0x3e3c28d5, v48
	v_dual_add_f32 v0, v65, v0 :: v_dual_add_f32 v81, v146, v81
	v_dual_fmamk_f32 v146, v89, 0xbf763a35, v165 :: v_dual_add_f32 v79, v82, v79
	v_fmamk_f32 v82, v100, 0x3f6eb680, v207
	v_add_f32_e32 v4, v4, v3
	v_fmac_f32_e32 v157, 0xbeb8f4ab, v95
	s_delay_alu instid0(VALU_DEP_4)
	v_add_f32_e32 v81, v146, v81
	v_fma_f32 v65, 0x3dbcf732, v97, -v231
	v_dual_add_f32 v79, v82, v79 :: v_dual_fmamk_f32 v82, v101, 0x3ee437d1, v218
	v_fmac_f32_e32 v165, 0x3f763a35, v89
	v_fma_f32 v51, 0x3f3d2fb0, v97, -v51
	v_dual_add_f32 v3, v120, v2 :: v_dual_fmac_f32 v124, 0xbf06c442, v89
	s_delay_alu instid0(VALU_DEP_4) | instskip(SKIP_4) | instid1(VALU_DEP_4)
	v_add_f32_e32 v79, v82, v79
	v_fmamk_f32 v82, v102, 0xbf59a7d5, v220
	v_fma_f32 v2, 0xbf59a7d5, v96, -v139
	v_add_f32_e32 v4, v5, v4
	v_fma_f32 v5, 0x3f3d2fb0, v100, -v105
	v_dual_fmac_f32 v130, 0xbf2c7751, v93 :: v_dual_add_f32 v79, v82, v79
	v_fmamk_f32 v82, v104, 0xbf1a4643, v211
	v_add_f32_e32 v2, v44, v2
	s_delay_alu instid0(VALU_DEP_4) | instskip(SKIP_1) | instid1(VALU_DEP_4)
	v_add_f32_e32 v4, v5, v4
	v_fma_f32 v5, 0xbf1a4643, v101, -v106
	v_dual_fmac_f32 v172, 0x3f06c442, v90 :: v_dual_add_f32 v79, v82, v79
	v_fmamk_f32 v82, v103, 0x3f3d2fb0, v195
	v_fmamk_f32 v146, v92, 0xbf2c7751, v166
	s_delay_alu instid0(VALU_DEP_4) | instskip(SKIP_4) | instid1(VALU_DEP_4)
	v_add_f32_e32 v4, v5, v4
	v_fma_f32 v5, 0x3ee437d1, v102, -v107
	v_fmac_f32_e32 v173, 0x3f2c7751, v91
	v_dual_add_f32 v79, v82, v79 :: v_dual_fmamk_f32 v82, v96, 0x3ee437d1, v212
	v_dual_add_f32 v81, v146, v81 :: v_dual_fmamk_f32 v146, v93, 0x3eb8f4ab, v182
	v_add_f32_e32 v4, v5, v4
	v_fma_f32 v5, 0xbe8c1d8e, v104, -v118
	s_delay_alu instid0(VALU_DEP_4) | instskip(NEXT) | instid1(VALU_DEP_4)
	v_add_f32_e32 v82, v44, v82
	v_dual_fmac_f32 v132, 0x3f65296c, v98 :: v_dual_add_f32 v81, v146, v81
	v_fmamk_f32 v146, v95, 0x3f7ee86f, v183
	s_delay_alu instid0(VALU_DEP_4) | instskip(NEXT) | instid1(VALU_DEP_4)
	v_add_f32_e32 v4, v5, v4
	v_add_f32_e32 v82, v196, v82
	v_fmamk_f32 v196, v99, 0xbf7ba420, v204
	v_fma_f32 v5, 0x3dbcf732, v103, -v119
	v_add_f32_e32 v81, v146, v81
	v_fmamk_f32 v146, v98, 0x3f06c442, v184
	s_delay_alu instid0(VALU_DEP_4) | instskip(SKIP_2) | instid1(VALU_DEP_4)
	v_dual_add_f32 v1, v66, v1 :: v_dual_add_f32 v196, v196, v82
	v_fmac_f32_e32 v183, 0xbf7ee86f, v95
	v_fmac_f32_e32 v158, 0xbf4c4adb, v98
	v_add_f32_e32 v82, v146, v81
	s_delay_alu instid0(VALU_DEP_4) | instskip(SKIP_2) | instid1(VALU_DEP_3)
	v_dual_fmamk_f32 v81, v94, 0x3f2c7751, v224 :: v_dual_add_f32 v146, v197, v196
	v_fmamk_f32 v196, v101, 0x3f3d2fb0, v214
	v_fmamk_f32 v197, v90, 0x3f7ee86f, v225
	v_dual_fmac_f32 v170, 0xbf65296c, v92 :: v_dual_add_f32 v81, v45, v81
	v_fmac_f32_e32 v186, 0xbf06c442, v93
	s_delay_alu instid0(VALU_DEP_4)
	v_add_f32_e32 v146, v196, v146
	v_fmamk_f32 v196, v102, 0x3f6eb680, v215
	v_fmac_f32_e32 v174, 0xbf65296c, v89
	v_add_f32_e32 v81, v197, v81
	v_fmamk_f32 v197, v91, 0x3f4c4adb, v226
	v_fmac_f32_e32 v226, 0xbf4c4adb, v91
	v_add_f32_e32 v146, v196, v146
	v_fmamk_f32 v196, v104, 0x3dbcf732, v216
	s_delay_alu instid0(VALU_DEP_4) | instskip(SKIP_1) | instid1(VALU_DEP_3)
	v_dual_fmac_f32 v190, 0xbf7ee86f, v94 :: v_dual_add_f32 v81, v197, v81
	v_fmamk_f32 v197, v89, 0x3e3c28d5, v227
	v_dual_fmac_f32 v227, 0xbe3c28d5, v89 :: v_dual_add_f32 v146, v196, v146
	v_fmamk_f32 v196, v103, 0xbf59a7d5, v209
	s_delay_alu instid0(VALU_DEP_3) | instskip(SKIP_3) | instid1(VALU_DEP_4)
	v_dual_fmac_f32 v162, 0xbe3c28d5, v90 :: v_dual_add_f32 v197, v197, v81
	v_fmac_f32_e32 v198, 0xbf65296c, v94
	v_fmac_f32_e32 v180, 0x3f2c7751, v98
	;; [unrolled: 1-line block ×3, first 2 shown]
	v_dual_fmac_f32 v224, 0xbf2c7751, v94 :: v_dual_add_f32 v197, v210, v197
	v_fmamk_f32 v210, v93, 0xbf763a35, v230
	v_fmac_f32_e32 v182, 0xbeb8f4ab, v93
	v_fmac_f32_e32 v166, 0x3f2c7751, v92
	;; [unrolled: 1-line block ×4, first 2 shown]
	v_dual_add_f32 v210, v210, v197 :: v_dual_mul_f32 v197, 0xbe3c28d5, v188
	v_fmac_f32_e32 v230, 0x3f763a35, v93
	v_fmac_f32_e32 v52, 0xbf06c442, v95
	v_fmac_f32_e32 v48, 0xbe3c28d5, v98
	s_delay_alu instid0(VALU_DEP_4) | instskip(SKIP_4) | instid1(VALU_DEP_3)
	v_add_f32_e32 v222, v222, v210
	v_dual_mul_f32 v210, 0x3f06c442, v189 :: v_dual_add_f32 v81, v196, v146
	v_fmamk_f32 v146, v96, 0x3f3d2fb0, v229
	v_mul_f32_e32 v196, 0xbf4c4adb, v181
	v_fmamk_f32 v233, v100, 0xbf7ba420, v197
	v_add_f32_e32 v219, v44, v146
	v_mul_f32_e32 v146, 0x3f6eb680, v194
	s_delay_alu instid0(VALU_DEP_4) | instskip(NEXT) | instid1(VALU_DEP_2)
	v_fmamk_f32 v223, v99, 0xbf1a4643, v196
	v_dual_add_f32 v221, v221, v219 :: v_dual_fmamk_f32 v232, v98, 0xbeb8f4ab, v146
	v_mul_f32_e32 v219, 0x3f6eb680, v84
	s_delay_alu instid0(VALU_DEP_2) | instskip(NEXT) | instid1(VALU_DEP_3)
	v_dual_fmac_f32 v146, 0x3eb8f4ab, v98 :: v_dual_add_f32 v223, v223, v221
	v_add_f32_e32 v84, v232, v222
	s_delay_alu instid0(VALU_DEP_3) | instskip(SKIP_3) | instid1(VALU_DEP_3)
	v_fmamk_f32 v222, v94, 0x3eb8f4ab, v219
	v_mul_f32_e32 v221, 0x3f3d2fb0, v208
	v_fmamk_f32 v232, v101, 0xbf59a7d5, v210
	v_dual_add_f32 v223, v233, v223 :: v_dual_mul_f32 v208, 0x3f763a35, v185
	v_dual_add_f32 v233, v45, v222 :: v_dual_fmamk_f32 v234, v90, 0x3f2c7751, v221
	v_mul_f32_e32 v222, 0x3ee437d1, v206
	s_delay_alu instid0(VALU_DEP_3) | instskip(NEXT) | instid1(VALU_DEP_4)
	v_dual_add_f32 v232, v232, v223 :: v_dual_mul_f32 v223, 0x3dbcf732, v201
	v_fmamk_f32 v235, v102, 0xbe8c1d8e, v208
	s_delay_alu instid0(VALU_DEP_3) | instskip(SKIP_1) | instid1(VALU_DEP_3)
	v_dual_add_f32 v233, v234, v233 :: v_dual_fmamk_f32 v234, v91, 0x3f65296c, v222
	v_mul_f32_e32 v206, 0x3f65296c, v192
	v_dual_mul_f32 v201, 0x3eb8f4ab, v193 :: v_dual_add_f32 v232, v235, v232
	s_delay_alu instid0(VALU_DEP_3) | instskip(SKIP_1) | instid1(VALU_DEP_4)
	v_dual_fmac_f32 v222, 0xbf65296c, v91 :: v_dual_add_f32 v233, v234, v233
	v_fmamk_f32 v234, v89, 0x3f7ee86f, v223
	v_fmamk_f32 v235, v104, 0x3ee437d1, v206
	v_fmac_f32_e32 v219, 0xbeb8f4ab, v94
	v_fmac_f32_e32 v223, 0xbf7ee86f, v89
	s_delay_alu instid0(VALU_DEP_3) | instskip(SKIP_3) | instid1(VALU_DEP_2)
	v_dual_add_f32 v233, v234, v233 :: v_dual_add_f32 v232, v235, v232
	v_fmamk_f32 v235, v103, 0x3f6eb680, v201
	v_fmamk_f32 v234, v92, 0x3f763a35, v202
	v_fmac_f32_e32 v202, 0xbf763a35, v92
	v_dual_add_f32 v83, v235, v232 :: v_dual_add_f32 v232, v234, v233
	s_delay_alu instid0(VALU_DEP_1) | instskip(SKIP_1) | instid1(VALU_DEP_1)
	v_add_f32_e32 v49, v55, v232
	v_fmamk_f32 v55, v96, 0x3f6eb680, v168
	v_dual_add_f32 v49, v54, v49 :: v_dual_add_f32 v54, v44, v55
	v_mul_f32_e32 v55, 0xbf65296c, v181
	s_delay_alu instid0(VALU_DEP_2) | instskip(NEXT) | instid1(VALU_DEP_2)
	v_dual_add_f32 v47, v57, v49 :: v_dual_add_f32 v50, v50, v54
	v_fmamk_f32 v54, v99, 0x3ee437d1, v55
	s_delay_alu instid0(VALU_DEP_1) | instskip(SKIP_1) | instid1(VALU_DEP_1)
	v_dual_mul_f32 v57, 0xbf06c442, v192 :: v_dual_add_f32 v50, v54, v50
	v_fmamk_f32 v54, v100, 0x3dbcf732, v60
	v_dual_fmamk_f32 v8, v104, 0xbf59a7d5, v57 :: v_dual_add_f32 v49, v54, v50
	v_fmamk_f32 v50, v101, 0xbe8c1d8e, v56
	v_mul_f32_e32 v54, 0xbf4c4adb, v185
	s_delay_alu instid0(VALU_DEP_2) | instskip(NEXT) | instid1(VALU_DEP_2)
	v_add_f32_e32 v46, v50, v49
	v_fmamk_f32 v49, v102, 0xbf1a4643, v54
	v_fma_f32 v50, 0xbf7ba420, v97, -v200
	s_delay_alu instid0(VALU_DEP_2) | instskip(SKIP_2) | instid1(VALU_DEP_3)
	v_dual_fmac_f32 v177, 0x3f7ee86f, v93 :: v_dual_add_f32 v10, v49, v46
	v_fma_f32 v49, 0xbf59a7d5, v97, -v178
	v_fmac_f32_e32 v221, 0xbf2c7751, v90
	v_add_f32_e32 v6, v8, v10
	v_fma_f32 v8, 0xbf7ba420, v102, -v161
	v_fma_f32 v10, 0xbe8c1d8e, v97, -v153
	s_delay_alu instid0(VALU_DEP_3) | instskip(SKIP_2) | instid1(VALU_DEP_2)
	v_add_f32_e32 v46, v7, v6
	v_add_f32_e32 v6, v45, v135
	v_fma_f32 v7, 0x3ee437d1, v97, -v140
	v_add_f32_e32 v6, v121, v6
	s_delay_alu instid0(VALU_DEP_2) | instskip(SKIP_1) | instid1(VALU_DEP_3)
	v_add_f32_e32 v2, v7, v2
	v_fma_f32 v7, 0x3dbcf732, v99, -v141
	v_add_f32_e32 v6, v122, v6
	s_delay_alu instid0(VALU_DEP_2) | instskip(SKIP_1) | instid1(VALU_DEP_3)
	;; [unrolled: 4-line block ×3, first 2 shown]
	v_add_f32_e32 v2, v7, v2
	v_fma_f32 v7, 0x3f6eb680, v101, -v160
	v_add_f32_e32 v6, v127, v6
	s_delay_alu instid0(VALU_DEP_2) | instskip(NEXT) | instid1(VALU_DEP_2)
	v_add_f32_e32 v7, v7, v2
	v_add_f32_e32 v6, v133, v6
	;; [unrolled: 1-line block ×3, first 2 shown]
	s_delay_alu instid0(VALU_DEP_2) | instskip(NEXT) | instid1(VALU_DEP_4)
	v_add_f32_e32 v4, v128, v6
	v_add_f32_e32 v6, v8, v7
	v_fma_f32 v7, 0x3f3d2fb0, v104, -v149
	v_add_f32_e32 v8, v45, v137
	s_delay_alu instid0(VALU_DEP_4) | instskip(SKIP_1) | instid1(VALU_DEP_4)
	v_add_f32_e32 v5, v129, v4
	v_fma_f32 v4, 0xbf1a4643, v96, -v151
	v_add_f32_e32 v6, v7, v6
	v_fma_f32 v7, 0xbe8c1d8e, v103, -v136
	v_add_f32_e32 v8, v134, v8
	s_delay_alu instid0(VALU_DEP_2) | instskip(NEXT) | instid1(VALU_DEP_2)
	v_dual_add_f32 v9, v44, v4 :: v_dual_add_f32 v4, v7, v6
	v_add_f32_e32 v6, v123, v8
	v_fma_f32 v8, 0x3f6eb680, v99, -v142
	s_delay_alu instid0(VALU_DEP_2) | instskip(NEXT) | instid1(VALU_DEP_1)
	v_add_f32_e32 v6, v124, v6
	v_add_f32_e32 v6, v125, v6
	s_delay_alu instid0(VALU_DEP_1) | instskip(SKIP_2) | instid1(VALU_DEP_2)
	v_add_f32_e32 v6, v130, v6
	v_add_f32_e32 v7, v10, v9
	v_fma_f32 v10, 0xbf7ba420, v104, -v156
	v_dual_add_f32 v6, v131, v6 :: v_dual_add_f32 v7, v8, v7
	v_fma_f32 v8, 0xbf59a7d5, v100, -v143
	s_delay_alu instid0(VALU_DEP_1) | instskip(SKIP_1) | instid1(VALU_DEP_1)
	v_add_f32_e32 v7, v8, v7
	v_fma_f32 v8, 0x3dbcf732, v101, -v154
	v_add_f32_e32 v7, v8, v7
	v_fma_f32 v8, 0x3f3d2fb0, v102, -v155
	s_delay_alu instid0(VALU_DEP_1) | instskip(SKIP_2) | instid1(VALU_DEP_3)
	v_add_f32_e32 v8, v8, v7
	v_add_f32_e32 v7, v132, v6
	v_fma_f32 v6, 0xbe8c1d8e, v96, -v176
	v_add_f32_e32 v8, v10, v8
	v_fma_f32 v10, 0x3ee437d1, v103, -v145
	v_fmac_f32_e32 v171, 0xbf763a35, v94
	s_delay_alu instid0(VALU_DEP_2) | instskip(NEXT) | instid1(VALU_DEP_2)
	v_dual_add_f32 v11, v44, v6 :: v_dual_add_f32 v6, v10, v8
	v_add_f32_e32 v9, v45, v171
	s_delay_alu instid0(VALU_DEP_2) | instskip(SKIP_1) | instid1(VALU_DEP_1)
	v_add_f32_e32 v10, v49, v11
	v_fma_f32 v11, 0x3f3d2fb0, v99, -v159
	v_dual_add_f32 v9, v172, v9 :: v_dual_add_f32 v10, v11, v10
	v_fma_f32 v11, 0x3ee437d1, v100, -v138
	s_delay_alu instid0(VALU_DEP_1) | instskip(SKIP_1) | instid1(VALU_DEP_2)
	v_dual_add_f32 v9, v173, v9 :: v_dual_add_f32 v10, v11, v10
	v_fma_f32 v11, 0xbf7ba420, v101, -v147
	v_add_f32_e32 v9, v174, v9
	s_delay_alu instid0(VALU_DEP_2) | instskip(SKIP_1) | instid1(VALU_DEP_2)
	v_dual_fmac_f32 v175, 0xbe3c28d5, v92 :: v_dual_add_f32 v10, v11, v10
	v_fma_f32 v11, 0x3dbcf732, v102, -v148
	v_add_f32_e32 v9, v175, v9
	s_delay_alu instid0(VALU_DEP_1) | instskip(SKIP_1) | instid1(VALU_DEP_2)
	v_dual_add_f32 v10, v11, v10 :: v_dual_add_f32 v9, v177, v9
	v_fma_f32 v11, 0x3f6eb680, v104, -v150
	v_add_f32_e32 v8, v157, v9
	s_delay_alu instid0(VALU_DEP_2) | instskip(SKIP_1) | instid1(VALU_DEP_3)
	v_add_f32_e32 v10, v11, v10
	v_fma_f32 v11, 0xbf1a4643, v103, -v152
	v_add_f32_e32 v9, v158, v8
	v_fma_f32 v8, 0x3dbcf732, v96, -v199
	s_delay_alu instid0(VALU_DEP_1) | instskip(NEXT) | instid1(VALU_DEP_1)
	v_add_f32_e32 v8, v44, v8
	v_add_f32_e32 v8, v50, v8
	v_fma_f32 v50, 0xbe8c1d8e, v99, -v203
	s_delay_alu instid0(VALU_DEP_1) | instskip(SKIP_1) | instid1(VALU_DEP_1)
	v_add_f32_e32 v8, v50, v8
	v_fma_f32 v50, 0x3f6eb680, v100, -v207
	v_dual_add_f32 v49, v45, v190 :: v_dual_add_f32 v8, v50, v8
	s_delay_alu instid0(VALU_DEP_1) | instskip(SKIP_1) | instid1(VALU_DEP_1)
	v_add_f32_e32 v49, v162, v49
	v_fma_f32 v50, 0x3ee437d1, v101, -v218
	v_dual_fmac_f32 v163, 0x3f763a35, v91 :: v_dual_add_f32 v50, v50, v8
	v_add_f32_e32 v8, v11, v10
	s_delay_alu instid0(VALU_DEP_2) | instskip(NEXT) | instid1(VALU_DEP_1)
	v_add_f32_e32 v49, v163, v49
	v_add_f32_e32 v49, v167, v49
	s_delay_alu instid0(VALU_DEP_1) | instskip(NEXT) | instid1(VALU_DEP_1)
	v_add_f32_e32 v49, v170, v49
	v_add_f32_e32 v49, v186, v49
	s_delay_alu instid0(VALU_DEP_1) | instskip(SKIP_3) | instid1(VALU_DEP_4)
	v_add_f32_e32 v10, v179, v49
	v_add_f32_e32 v49, v59, v50
	v_fma_f32 v50, 0xbf1a4643, v104, -v211
	v_add_f32_e32 v59, v45, v198
	v_add_f32_e32 v11, v180, v10
	v_fma_f32 v10, 0x3ee437d1, v96, -v212
	s_delay_alu instid0(VALU_DEP_4) | instskip(SKIP_2) | instid1(VALU_DEP_2)
	v_add_f32_e32 v49, v50, v49
	v_fma_f32 v50, 0x3f3d2fb0, v103, -v195
	v_add_f32_e32 v59, v187, v59
	v_dual_add_f32 v61, v44, v10 :: v_dual_add_f32 v10, v50, v49
	s_delay_alu instid0(VALU_DEP_2) | instskip(SKIP_1) | instid1(VALU_DEP_3)
	v_add_f32_e32 v49, v164, v59
	v_fma_f32 v59, 0xbf7ba420, v99, -v204
	v_dual_add_f32 v50, v62, v61 :: v_dual_add_f32 v61, v45, v224
	v_add_f32_e32 v45, v45, v219
	v_fma_f32 v62, 0x3dbcf732, v104, -v216
	s_delay_alu instid0(VALU_DEP_3) | instskip(SKIP_1) | instid1(VALU_DEP_1)
	v_add_f32_e32 v50, v59, v50
	v_fma_f32 v59, 0xbe8c1d8e, v100, -v205
	v_dual_add_f32 v45, v221, v45 :: v_dual_add_f32 v50, v59, v50
	v_fma_f32 v59, 0x3f3d2fb0, v101, -v214
	s_delay_alu instid0(VALU_DEP_1) | instskip(SKIP_2) | instid1(VALU_DEP_3)
	v_dual_add_f32 v45, v222, v45 :: v_dual_add_f32 v50, v59, v50
	v_add_f32_e32 v49, v165, v49
	v_fma_f32 v59, 0x3f6eb680, v102, -v215
	v_add_f32_e32 v45, v223, v45
	s_delay_alu instid0(VALU_DEP_3) | instskip(NEXT) | instid1(VALU_DEP_3)
	v_add_f32_e32 v49, v166, v49
	v_add_f32_e32 v59, v59, v50
	s_delay_alu instid0(VALU_DEP_3) | instskip(NEXT) | instid1(VALU_DEP_3)
	v_add_f32_e32 v45, v202, v45
	v_add_f32_e32 v49, v182, v49
	s_delay_alu instid0(VALU_DEP_3) | instskip(SKIP_1) | instid1(VALU_DEP_4)
	v_add_f32_e32 v59, v62, v59
	v_fma_f32 v62, 0xbf59a7d5, v103, -v209
	v_add_f32_e32 v45, v53, v45
	v_fmac_f32_e32 v217, 0x3f65296c, v95
	v_add_f32_e32 v49, v183, v49
	v_fmac_f32_e32 v225, 0xbf7ee86f, v90
	v_fma_f32 v53, 0x3f6eb680, v103, -v201
	v_add_f32_e32 v52, v52, v45
	s_delay_alu instid0(VALU_DEP_4) | instskip(NEXT) | instid1(VALU_DEP_4)
	v_add_f32_e32 v50, v184, v49
	v_add_f32_e32 v61, v225, v61
	v_fma_f32 v49, 0x3f3d2fb0, v96, -v229
	s_delay_alu instid0(VALU_DEP_2) | instskip(NEXT) | instid1(VALU_DEP_2)
	v_dual_add_f32 v52, v48, v52 :: v_dual_add_f32 v61, v226, v61
	v_add_f32_e32 v63, v44, v49
	v_add_f32_e32 v49, v62, v59
	s_delay_alu instid0(VALU_DEP_2) | instskip(SKIP_1) | instid1(VALU_DEP_2)
	v_dual_add_f32 v61, v227, v61 :: v_dual_add_f32 v62, v65, v63
	v_fma_f32 v63, 0xbf1a4643, v99, -v196
	v_add_f32_e32 v61, v228, v61
	s_delay_alu instid0(VALU_DEP_1) | instskip(NEXT) | instid1(VALU_DEP_1)
	v_add_f32_e32 v61, v230, v61
	v_add_f32_e32 v59, v217, v61
	v_fma_f32 v61, 0x3f6eb680, v96, -v168
	s_delay_alu instid0(VALU_DEP_1) | instskip(SKIP_2) | instid1(VALU_DEP_3)
	v_dual_add_f32 v45, v146, v59 :: v_dual_add_f32 v44, v44, v61
	v_add_f32_e32 v61, v63, v62
	v_fma_f32 v62, 0xbf7ba420, v100, -v197
	v_add_f32_e32 v44, v51, v44
	v_fma_f32 v51, 0x3ee437d1, v99, -v55
	s_delay_alu instid0(VALU_DEP_3) | instskip(SKIP_1) | instid1(VALU_DEP_3)
	v_add_f32_e32 v55, v62, v61
	v_fma_f32 v61, 0xbf59a7d5, v101, -v210
	v_add_f32_e32 v44, v51, v44
	v_fma_f32 v51, 0x3dbcf732, v100, -v60
	s_delay_alu instid0(VALU_DEP_3) | instskip(SKIP_1) | instid1(VALU_DEP_3)
	;; [unrolled: 5-line block ×3, first 2 shown]
	v_add_f32_e32 v55, v60, v55
	v_fma_f32 v56, 0x3ee437d1, v104, -v206
	v_add_f32_e32 v44, v51, v44
	v_fma_f32 v51, 0xbf1a4643, v102, -v54
	s_delay_alu instid0(VALU_DEP_3) | instskip(SKIP_2) | instid1(VALU_DEP_4)
	v_add_f32_e32 v54, v56, v55
	v_and_b32_e32 v55, 0xffff, v87
	v_fma_f32 v56, 0xbf7ba420, v103, -v58
	v_add_f32_e32 v44, v51, v44
	v_fma_f32 v51, 0xbf59a7d5, v104, -v57
	s_delay_alu instid0(VALU_DEP_4) | instskip(NEXT) | instid1(VALU_DEP_2)
	v_lshlrev_b32_e32 v55, 3, v55
	v_dual_add_f32 v51, v51, v44 :: v_dual_add_f32 v44, v53, v54
	s_delay_alu instid0(VALU_DEP_1)
	v_add_f32_e32 v51, v56, v51
	ds_store_2addr_b64 v55, v[0:1], v[46:47] offset1:1
	ds_store_2addr_b64 v55, v[83:84], v[81:82] offset0:2 offset1:3
	ds_store_2addr_b64 v55, v[79:80], v[77:78] offset0:4 offset1:5
	;; [unrolled: 1-line block ×7, first 2 shown]
	ds_store_b64 v55, v[51:52] offset:128
.LBB0_13:
	s_wait_alu 0xfffe
	s_or_b32 exec_lo, exec_lo, s4
	global_wb scope:SCOPE_SE
	s_wait_dscnt 0x0
	s_barrier_signal -1
	s_barrier_wait -1
	global_inv scope:SCOPE_SE
	ds_load_2addr_b64 v[4:7], v85 offset1:170
	v_add_nc_u32_e32 v2, 0x800, v85
	s_wait_dscnt 0x0
	v_dual_mul_f32 v56, v25, v7 :: v_dual_add_nc_u32 v1, 0x1400, v85
	v_add_nc_u32_e32 v3, 0x1e00, v85
	v_mul_f32_e32 v25, v25, v6
	ds_load_2addr_b64 v[8:11], v2 offset0:84 offset1:254
	ds_load_2addr_b64 v[44:47], v1 offset0:40 offset1:210
	v_add_nc_u32_e32 v0, 0x2800, v85
	v_fmac_f32_e32 v56, v24, v6
	ds_load_2addr_b64 v[48:51], v3 offset0:60 offset1:230
	v_fma_f32 v7, v24, v7, -v25
	s_wait_dscnt 0x2
	v_dual_mul_f32 v25, v21, v11 :: v_dual_mul_f32 v6, v27, v9
	v_dual_mul_f32 v21, v21, v10 :: v_dual_mul_f32 v24, v27, v8
	s_wait_dscnt 0x1
	v_mul_f32_e32 v57, v17, v47
	ds_load_2addr_b64 v[52:55], v0 offset0:80 offset1:250
	v_dual_mul_f32 v27, v23, v45 :: v_dual_fmac_f32 v6, v26, v8
	v_mul_f32_e32 v23, v23, v44
	v_fma_f32 v8, v26, v9, -v24
	v_fma_f32 v9, v20, v11, -v21
	s_wait_dscnt 0x1
	v_mul_f32_e32 v11, v19, v49
	v_fmac_f32_e32 v27, v22, v44
	v_dual_fmac_f32 v25, v20, v10 :: v_dual_mul_f32 v20, v13, v51
	v_fma_f32 v10, v22, v45, -v23
	v_dual_mul_f32 v19, v19, v48 :: v_dual_add_f32 v22, v4, v6
	s_delay_alu instid0(VALU_DEP_3) | instskip(SKIP_1) | instid1(VALU_DEP_3)
	v_dual_fmac_f32 v11, v18, v48 :: v_dual_fmac_f32 v20, v12, v50
	v_sub_f32_e32 v24, v6, v27
	v_fma_f32 v18, v18, v49, -v19
	v_fmac_f32_e32 v57, v16, v46
	s_delay_alu instid0(VALU_DEP_4)
	v_add_f32_e32 v19, v27, v11
	v_mul_f32_e32 v13, v13, v50
	global_wb scope:SCOPE_SE
	s_wait_dscnt 0x0
	v_add_f32_e32 v48, v10, v18
	s_barrier_signal -1
	v_fma_f32 v19, -0.5, v19, v4
	v_mul_f32_e32 v17, v17, v46
	v_fma_f32 v12, v12, v51, -v13
	v_add_f32_e32 v13, v22, v27
	s_barrier_wait -1
	global_inv scope:SCOPE_SE
	v_fma_f32 v16, v16, v47, -v17
	v_mul_f32_e32 v17, v15, v52
	v_mul_f32_e32 v15, v15, v53
	v_add_f32_e32 v47, v5, v8
	s_delay_alu instid0(VALU_DEP_2) | instskip(NEXT) | instid1(VALU_DEP_1)
	v_fmac_f32_e32 v15, v14, v52
	v_add_f32_e32 v44, v6, v15
	v_fma_f32 v17, v14, v53, -v17
	s_delay_alu instid0(VALU_DEP_1) | instskip(NEXT) | instid1(VALU_DEP_1)
	v_dual_sub_f32 v14, v10, v18 :: v_dual_sub_f32 v23, v8, v17
	v_fmamk_f32 v22, v23, 0xbf737871, v19
	s_delay_alu instid0(VALU_DEP_1) | instskip(SKIP_3) | instid1(VALU_DEP_3)
	v_fmac_f32_e32 v22, 0xbf167918, v14
	v_sub_f32_e32 v26, v15, v11
	v_add_f32_e32 v13, v13, v11
	v_mul_f32_e32 v45, v68, v54
	v_add_f32_e32 v24, v24, v26
	v_fma_f32 v26, -0.5, v44, v4
	v_mul_f32_e32 v21, v68, v55
	v_add_f32_e32 v44, v13, v15
	v_fmac_f32_e32 v19, 0x3f737871, v23
	v_fma_f32 v4, v67, v55, -v45
	v_fmamk_f32 v45, v14, 0x3f737871, v26
	v_fmac_f32_e32 v26, 0xbf737871, v14
	v_sub_f32_e32 v13, v27, v6
	v_fmac_f32_e32 v19, 0x3f167918, v14
	v_add_f32_e32 v14, v47, v10
	v_dual_fmac_f32 v21, v67, v54 :: v_dual_sub_f32 v6, v6, v15
	v_dual_sub_f32 v46, v11, v15 :: v_dual_add_f32 v15, v8, v17
	v_fmac_f32_e32 v22, 0x3e9e377a, v24
	v_fmac_f32_e32 v19, 0x3e9e377a, v24
	;; [unrolled: 1-line block ×3, first 2 shown]
	v_dual_sub_f32 v11, v27, v11 :: v_dual_sub_f32 v24, v8, v10
	v_fma_f32 v47, -0.5, v15, v5
	v_add_f32_e32 v13, v13, v46
	v_fma_f32 v46, -0.5, v48, v5
	v_sub_f32_e32 v8, v10, v8
	v_sub_f32_e32 v10, v18, v17
	v_add_f32_e32 v14, v14, v18
	s_delay_alu instid0(VALU_DEP_2)
	v_dual_add_f32 v8, v8, v10 :: v_dual_fmac_f32 v45, 0xbf167918, v23
	v_fmamk_f32 v23, v6, 0x3f737871, v46
	v_fmac_f32_e32 v46, 0xbf737871, v6
	v_sub_f32_e32 v27, v17, v18
	v_sub_f32_e32 v18, v57, v25
	v_add_f32_e32 v15, v14, v17
	s_delay_alu instid0(VALU_DEP_3) | instskip(SKIP_2) | instid1(VALU_DEP_3)
	v_dual_add_f32 v5, v24, v27 :: v_dual_fmamk_f32 v24, v11, 0xbf737871, v47
	v_sub_f32_e32 v27, v20, v21
	v_fmac_f32_e32 v26, 0x3e9e377a, v13
	v_fmac_f32_e32 v24, 0x3f167918, v6
	;; [unrolled: 1-line block ×5, first 2 shown]
	s_delay_alu instid0(VALU_DEP_4) | instskip(NEXT) | instid1(VALU_DEP_4)
	v_dual_add_f32 v13, v56, v25 :: v_dual_fmac_f32 v24, 0x3e9e377a, v8
	v_dual_fmac_f32 v47, 0xbf167918, v6 :: v_dual_add_f32 v6, v25, v21
	v_fmac_f32_e32 v23, 0x3f167918, v11
	v_add_f32_e32 v11, v57, v20
	s_delay_alu instid0(VALU_DEP_3) | instskip(SKIP_1) | instid1(VALU_DEP_3)
	v_fmac_f32_e32 v47, 0x3e9e377a, v8
	v_sub_f32_e32 v8, v21, v20
	v_fma_f32 v11, -0.5, v11, v56
	v_dual_fmac_f32 v56, -0.5, v6 :: v_dual_fmac_f32 v23, 0x3e9e377a, v5
	v_sub_f32_e32 v6, v25, v57
	v_fmac_f32_e32 v46, 0x3e9e377a, v5
	s_delay_alu instid0(VALU_DEP_2) | instskip(SKIP_1) | instid1(VALU_DEP_1)
	v_add_f32_e32 v6, v6, v8
	v_add_f32_e32 v10, v13, v57
	;; [unrolled: 1-line block ×3, first 2 shown]
	v_sub_f32_e32 v10, v9, v4
	v_sub_f32_e32 v20, v57, v20
	v_add_f32_e32 v8, v18, v27
	v_add_f32_e32 v18, v7, v9
	v_dual_add_f32 v14, v5, v21 :: v_dual_sub_f32 v5, v16, v12
	v_fmamk_f32 v13, v10, 0xbf737871, v11
	v_fmac_f32_e32 v11, 0x3f737871, v10
	s_delay_alu instid0(VALU_DEP_3) | instskip(SKIP_1) | instid1(VALU_DEP_4)
	v_fmamk_f32 v17, v5, 0x3f737871, v56
	v_fmac_f32_e32 v56, 0xbf737871, v5
	v_fmac_f32_e32 v13, 0xbf167918, v5
	s_delay_alu instid0(VALU_DEP_2) | instskip(NEXT) | instid1(VALU_DEP_1)
	v_fmac_f32_e32 v56, 0x3f167918, v10
	v_dual_fmac_f32 v13, 0x3e9e377a, v6 :: v_dual_fmac_f32 v56, 0x3e9e377a, v8
	v_sub_f32_e32 v27, v12, v4
	v_dual_fmac_f32 v17, 0xbf167918, v10 :: v_dual_sub_f32 v10, v25, v21
	s_delay_alu instid0(VALU_DEP_1) | instskip(SKIP_2) | instid1(VALU_DEP_2)
	v_fmac_f32_e32 v17, 0x3e9e377a, v8
	v_dual_sub_f32 v8, v4, v12 :: v_dual_fmac_f32 v11, 0x3f167918, v5
	v_add_f32_e32 v5, v16, v12
	v_dual_fmac_f32 v11, 0x3e9e377a, v6 :: v_dual_add_f32 v6, v9, v4
	s_delay_alu instid0(VALU_DEP_2) | instskip(NEXT) | instid1(VALU_DEP_2)
	v_fma_f32 v5, -0.5, v5, v7
	v_dual_fmac_f32 v7, -0.5, v6 :: v_dual_sub_f32 v6, v9, v16
	v_sub_f32_e32 v9, v16, v9
	s_delay_alu instid0(VALU_DEP_2) | instskip(NEXT) | instid1(VALU_DEP_2)
	v_dual_fmamk_f32 v25, v20, 0xbf737871, v7 :: v_dual_add_f32 v6, v6, v8
	v_dual_add_f32 v8, v9, v27 :: v_dual_add_f32 v9, v18, v16
	s_delay_alu instid0(VALU_DEP_2) | instskip(NEXT) | instid1(VALU_DEP_1)
	v_fmac_f32_e32 v25, 0x3f167918, v10
	v_fmac_f32_e32 v25, 0x3e9e377a, v8
	s_delay_alu instid0(VALU_DEP_1) | instskip(SKIP_1) | instid1(VALU_DEP_1)
	v_mul_f32_e32 v18, 0xbf737871, v25
	v_fmac_f32_e32 v7, 0x3f737871, v20
	v_fmac_f32_e32 v7, 0xbf167918, v10
	s_delay_alu instid0(VALU_DEP_1) | instskip(NEXT) | instid1(VALU_DEP_1)
	v_fmac_f32_e32 v7, 0x3e9e377a, v8
	v_dual_add_f32 v8, v9, v12 :: v_dual_mul_f32 v49, 0xbe9e377a, v7
	s_delay_alu instid0(VALU_DEP_1)
	v_add_f32_e32 v27, v8, v4
	v_add_f32_e32 v4, v44, v14
	v_fmac_f32_e32 v18, 0x3e9e377a, v17
	v_fmamk_f32 v21, v10, 0x3f737871, v5
	v_fmac_f32_e32 v5, 0xbf737871, v10
	v_dual_fmac_f32 v49, 0x3f737871, v56 :: v_dual_sub_f32 v14, v44, v14
	s_delay_alu instid0(VALU_DEP_4) | instskip(NEXT) | instid1(VALU_DEP_3)
	v_add_f32_e32 v8, v45, v18
	v_dual_sub_f32 v18, v45, v18 :: v_dual_fmac_f32 v5, 0xbf167918, v20
	s_delay_alu instid0(VALU_DEP_1) | instskip(NEXT) | instid1(VALU_DEP_1)
	v_fmac_f32_e32 v5, 0x3e9e377a, v6
	v_mul_f32_e32 v48, 0xbf167918, v5
	s_delay_alu instid0(VALU_DEP_1) | instskip(SKIP_3) | instid1(VALU_DEP_4)
	v_fmac_f32_e32 v48, 0xbf4f1bbd, v11
	v_dual_mul_f32 v50, 0xbf4f1bbd, v5 :: v_dual_add_f32 v5, v15, v27
	v_fmac_f32_e32 v21, 0x3f167918, v20
	v_mul_f32_e32 v20, 0xbf737871, v7
	v_add_f32_e32 v12, v19, v48
	s_delay_alu instid0(VALU_DEP_4) | instskip(SKIP_3) | instid1(VALU_DEP_2)
	v_fmac_f32_e32 v50, 0x3f167918, v11
	v_mul_f32_e32 v25, 0x3e9e377a, v25
	v_fmac_f32_e32 v21, 0x3e9e377a, v6
	v_dual_fmac_f32 v20, 0xbe9e377a, v56 :: v_dual_add_f32 v11, v47, v49
	v_dual_sub_f32 v15, v15, v27 :: v_dual_mul_f32 v16, 0xbf167918, v21
	s_delay_alu instid0(VALU_DEP_2) | instskip(SKIP_1) | instid1(VALU_DEP_3)
	v_dual_mul_f32 v21, 0x3f4f1bbd, v21 :: v_dual_add_f32 v10, v26, v20
	v_sub_f32_e32 v20, v26, v20
	v_fmac_f32_e32 v16, 0x3f4f1bbd, v13
	s_delay_alu instid0(VALU_DEP_3) | instskip(SKIP_1) | instid1(VALU_DEP_3)
	v_fmac_f32_e32 v21, 0x3f167918, v13
	v_add_f32_e32 v13, v46, v50
	v_add_f32_e32 v6, v22, v16
	v_sub_f32_e32 v16, v22, v16
	v_dual_sub_f32 v22, v19, v48 :: v_dual_fmac_f32 v25, 0x3f737871, v17
	v_add_f32_e32 v7, v23, v21
	v_sub_f32_e32 v17, v23, v21
	v_sub_f32_e32 v21, v47, v49
	;; [unrolled: 1-line block ×3, first 2 shown]
	v_add_f32_e32 v9, v24, v25
	v_sub_f32_e32 v19, v24, v25
	ds_store_2addr_b64 v88, v[4:5], v[6:7] offset1:17
	ds_store_2addr_b64 v88, v[8:9], v[10:11] offset0:34 offset1:51
	ds_store_2addr_b64 v88, v[12:13], v[14:15] offset0:68 offset1:85
	;; [unrolled: 1-line block ×4, first 2 shown]
	global_wb scope:SCOPE_SE
	s_wait_dscnt 0x0
	s_barrier_signal -1
	s_barrier_wait -1
	global_inv scope:SCOPE_SE
	ds_load_2addr_b64 v[4:7], v85 offset1:170
	ds_load_2addr_b64 v[8:11], v2 offset0:84 offset1:254
	ds_load_2addr_b64 v[12:15], v1 offset0:40 offset1:210
	;; [unrolled: 1-line block ×4, first 2 shown]
	s_wait_dscnt 0x4
	v_mul_f32_e32 v24, v41, v7
	s_wait_dscnt 0x3
	v_dual_mul_f32 v25, v41, v6 :: v_dual_mul_f32 v26, v43, v9
	s_delay_alu instid0(VALU_DEP_2) | instskip(SKIP_1) | instid1(VALU_DEP_3)
	v_fmac_f32_e32 v24, v40, v6
	v_mul_f32_e32 v6, v43, v8
	v_fma_f32 v7, v40, v7, -v25
	s_delay_alu instid0(VALU_DEP_4) | instskip(SKIP_4) | instid1(VALU_DEP_3)
	v_fmac_f32_e32 v26, v42, v8
	v_mul_f32_e32 v8, v37, v11
	v_mul_f32_e32 v25, v37, v10
	v_fma_f32 v6, v42, v9, -v6
	s_wait_dscnt 0x2
	v_dual_mul_f32 v9, v39, v13 :: v_dual_fmac_f32 v8, v36, v10
	s_delay_alu instid0(VALU_DEP_3) | instskip(SKIP_2) | instid1(VALU_DEP_1)
	v_fma_f32 v10, v36, v11, -v25
	s_wait_dscnt 0x1
	v_mul_f32_e32 v25, v35, v17
	v_fmac_f32_e32 v25, v34, v16
	v_mul_f32_e32 v27, v39, v12
	v_fmac_f32_e32 v9, v38, v12
	s_delay_alu instid0(VALU_DEP_2) | instskip(SKIP_4) | instid1(VALU_DEP_4)
	v_fma_f32 v12, v38, v13, -v27
	v_mul_f32_e32 v11, v33, v15
	v_mul_f32_e32 v27, v29, v19
	;; [unrolled: 1-line block ×3, first 2 shown]
	v_add_f32_e32 v33, v5, v6
	v_dual_fmac_f32 v11, v32, v14 :: v_dual_mul_f32 v14, v35, v16
	s_delay_alu instid0(VALU_DEP_4)
	v_fmac_f32_e32 v27, v28, v18
	v_mul_f32_e32 v16, v29, v18
	s_wait_dscnt 0x0
	v_mul_f32_e32 v18, v31, v21
	v_fma_f32 v13, v32, v15, -v13
	v_mul_f32_e32 v15, v31, v20
	v_add_f32_e32 v29, v4, v26
	v_fma_f32 v16, v28, v19, -v16
	v_fmac_f32_e32 v18, v30, v20
	v_fma_f32 v14, v34, v17, -v14
	v_fma_f32 v15, v30, v21, -v15
	v_mul_f32_e32 v21, v70, v23
	v_add_f32_e32 v19, v29, v9
	v_sub_f32_e32 v29, v26, v9
	v_sub_f32_e32 v30, v18, v25
	v_add_f32_e32 v32, v26, v18
	v_fmac_f32_e32 v21, v69, v22
	v_mul_f32_e32 v22, v70, v22
	v_sub_f32_e32 v28, v12, v14
	v_add_f32_e32 v29, v29, v30
	v_fma_f32 v30, -0.5, v32, v4
	v_sub_f32_e32 v32, v25, v18
	v_dual_add_f32 v17, v9, v25 :: v_dual_add_f32 v34, v12, v14
	s_delay_alu instid0(VALU_DEP_1) | instskip(SKIP_3) | instid1(VALU_DEP_2)
	v_fma_f32 v17, -0.5, v17, v4
	v_fma_f32 v4, v69, v23, -v22
	v_dual_sub_f32 v23, v9, v26 :: v_dual_fmamk_f32 v22, v28, 0x3f737871, v30
	v_fmac_f32_e32 v30, 0xbf737871, v28
	v_add_f32_e32 v23, v23, v32
	v_fma_f32 v32, -0.5, v34, v5
	v_sub_f32_e32 v31, v6, v15
	s_delay_alu instid0(VALU_DEP_1) | instskip(SKIP_2) | instid1(VALU_DEP_3)
	v_fmamk_f32 v20, v31, 0xbf737871, v17
	v_fmac_f32_e32 v17, 0x3f737871, v31
	v_fmac_f32_e32 v22, 0xbf167918, v31
	;; [unrolled: 1-line block ×3, first 2 shown]
	s_delay_alu instid0(VALU_DEP_3) | instskip(NEXT) | instid1(VALU_DEP_3)
	v_fmac_f32_e32 v17, 0x3f167918, v28
	v_dual_fmac_f32 v22, 0x3e9e377a, v23 :: v_dual_add_f32 v19, v19, v25
	v_add_f32_e32 v28, v33, v12
	s_delay_alu instid0(VALU_DEP_4) | instskip(NEXT) | instid1(VALU_DEP_4)
	v_fmac_f32_e32 v20, 0x3e9e377a, v29
	v_fmac_f32_e32 v17, 0x3e9e377a, v29
	v_add_f32_e32 v29, v6, v15
	v_sub_f32_e32 v9, v9, v25
	v_dual_sub_f32 v25, v6, v12 :: v_dual_sub_f32 v6, v12, v6
	v_dual_sub_f32 v12, v14, v15 :: v_dual_add_f32 v19, v19, v18
	v_sub_f32_e32 v18, v26, v18
	v_add_f32_e32 v26, v28, v14
	s_delay_alu instid0(VALU_DEP_3) | instskip(NEXT) | instid1(VALU_DEP_3)
	v_add_f32_e32 v6, v6, v12
	v_fmamk_f32 v28, v18, 0x3f737871, v32
	v_fmac_f32_e32 v32, 0xbf737871, v18
	v_dual_fmac_f32 v30, 0x3f167918, v31 :: v_dual_sub_f32 v31, v15, v14
	v_dual_add_f32 v26, v26, v15 :: v_dual_sub_f32 v33, v27, v21
	v_add_f32_e32 v14, v24, v8
	s_delay_alu instid0(VALU_DEP_3) | instskip(SKIP_3) | instid1(VALU_DEP_3)
	v_fmac_f32_e32 v30, 0x3e9e377a, v23
	v_fma_f32 v23, -0.5, v29, v5
	v_add_f32_e32 v5, v25, v31
	v_sub_f32_e32 v31, v11, v8
	v_dual_add_f32 v12, v11, v27 :: v_dual_fmamk_f32 v25, v9, 0xbf737871, v23
	v_fmac_f32_e32 v23, 0x3f737871, v9
	s_delay_alu instid0(VALU_DEP_2) | instskip(NEXT) | instid1(VALU_DEP_2)
	v_fmac_f32_e32 v25, 0x3f167918, v18
	v_fmac_f32_e32 v23, 0xbf167918, v18
	s_delay_alu instid0(VALU_DEP_2) | instskip(NEXT) | instid1(VALU_DEP_2)
	v_fmac_f32_e32 v25, 0x3e9e377a, v6
	v_dual_fmac_f32 v23, 0x3e9e377a, v6 :: v_dual_sub_f32 v6, v8, v11
	v_fmac_f32_e32 v28, 0x3f167918, v9
	v_dual_fmac_f32 v32, 0xbf167918, v9 :: v_dual_add_f32 v9, v14, v11
	v_dual_sub_f32 v14, v10, v4 :: v_dual_sub_f32 v11, v11, v27
	s_delay_alu instid0(VALU_DEP_3) | instskip(NEXT) | instid1(VALU_DEP_3)
	v_fmac_f32_e32 v28, 0x3e9e377a, v5
	v_dual_fmac_f32 v32, 0x3e9e377a, v5 :: v_dual_add_f32 v5, v9, v27
	v_fma_f32 v9, -0.5, v12, v24
	v_add_f32_e32 v12, v8, v21
	v_sub_f32_e32 v8, v8, v21
	s_delay_alu instid0(VALU_DEP_4) | instskip(SKIP_1) | instid1(VALU_DEP_4)
	v_add_f32_e32 v15, v5, v21
	v_sub_f32_e32 v5, v13, v16
	v_fmac_f32_e32 v24, -0.5, v12
	v_fmamk_f32 v18, v14, 0xbf737871, v9
	v_sub_f32_e32 v12, v21, v27
	s_delay_alu instid0(VALU_DEP_3) | instskip(NEXT) | instid1(VALU_DEP_3)
	v_fmamk_f32 v29, v5, 0x3f737871, v24
	v_fmac_f32_e32 v18, 0xbf167918, v5
	s_delay_alu instid0(VALU_DEP_3) | instskip(SKIP_1) | instid1(VALU_DEP_4)
	v_add_f32_e32 v6, v6, v12
	v_fmac_f32_e32 v24, 0xbf737871, v5
	v_fmac_f32_e32 v29, 0xbf167918, v14
	s_delay_alu instid0(VALU_DEP_3) | instskip(SKIP_1) | instid1(VALU_DEP_4)
	v_dual_fmac_f32 v18, 0x3e9e377a, v6 :: v_dual_sub_f32 v21, v4, v16
	v_fmac_f32_e32 v9, 0x3f737871, v14
	v_fmac_f32_e32 v24, 0x3f167918, v14
	s_delay_alu instid0(VALU_DEP_2) | instskip(SKIP_1) | instid1(VALU_DEP_2)
	v_dual_add_f32 v14, v7, v10 :: v_dual_fmac_f32 v9, 0x3f167918, v5
	v_add_f32_e32 v5, v13, v16
	v_dual_fmac_f32 v9, 0x3e9e377a, v6 :: v_dual_add_f32 v6, v10, v4
	s_delay_alu instid0(VALU_DEP_2) | instskip(NEXT) | instid1(VALU_DEP_2)
	v_fma_f32 v5, -0.5, v5, v7
	v_dual_fmac_f32 v7, -0.5, v6 :: v_dual_sub_f32 v6, v10, v13
	v_sub_f32_e32 v10, v13, v10
	v_dual_add_f32 v12, v31, v33 :: v_dual_sub_f32 v31, v16, v4
	s_delay_alu instid0(VALU_DEP_3) | instskip(NEXT) | instid1(VALU_DEP_4)
	v_fmamk_f32 v27, v11, 0xbf737871, v7
	v_dual_fmac_f32 v7, 0x3f737871, v11 :: v_dual_add_f32 v6, v6, v21
	s_delay_alu instid0(VALU_DEP_3)
	v_fmac_f32_e32 v29, 0x3e9e377a, v12
	v_fmac_f32_e32 v24, 0x3e9e377a, v12
	v_fmamk_f32 v12, v8, 0x3f737871, v5
	v_fmac_f32_e32 v27, 0x3f167918, v8
	v_fmac_f32_e32 v7, 0xbf167918, v8
	v_dual_fmac_f32 v5, 0xbf737871, v8 :: v_dual_add_f32 v8, v14, v13
	s_delay_alu instid0(VALU_DEP_4) | instskip(SKIP_1) | instid1(VALU_DEP_3)
	v_fmac_f32_e32 v12, 0x3f167918, v11
	v_sub_f32_e32 v14, v19, v15
	v_add_f32_e32 v8, v8, v16
	s_delay_alu instid0(VALU_DEP_1) | instskip(NEXT) | instid1(VALU_DEP_1)
	v_dual_fmac_f32 v12, 0x3e9e377a, v6 :: v_dual_add_f32 v33, v8, v4
	v_dual_mul_f32 v16, 0xbf167918, v12 :: v_dual_fmac_f32 v5, 0xbf167918, v11
	v_dual_add_f32 v4, v19, v15 :: v_dual_mul_f32 v35, 0x3f4f1bbd, v12
	s_delay_alu instid0(VALU_DEP_2) | instskip(NEXT) | instid1(VALU_DEP_3)
	v_fmac_f32_e32 v16, 0x3f4f1bbd, v18
	v_fmac_f32_e32 v5, 0x3e9e377a, v6
	s_delay_alu instid0(VALU_DEP_2) | instskip(NEXT) | instid1(VALU_DEP_2)
	v_dual_fmac_f32 v35, 0x3f167918, v18 :: v_dual_add_f32 v6, v20, v16
	v_mul_f32_e32 v34, 0xbf167918, v5
	v_dual_sub_f32 v16, v20, v16 :: v_dual_mul_f32 v37, 0xbf4f1bbd, v5
	s_delay_alu instid0(VALU_DEP_2) | instskip(NEXT) | instid1(VALU_DEP_2)
	v_fmac_f32_e32 v34, 0xbf4f1bbd, v9
	v_dual_add_f32 v10, v10, v31 :: v_dual_fmac_f32 v37, 0x3f167918, v9
	s_delay_alu instid0(VALU_DEP_2) | instskip(NEXT) | instid1(VALU_DEP_2)
	v_add_f32_e32 v12, v17, v34
	v_fmac_f32_e32 v7, 0x3e9e377a, v10
	v_fmac_f32_e32 v27, 0x3e9e377a, v10
	s_delay_alu instid0(VALU_DEP_4) | instskip(NEXT) | instid1(VALU_DEP_3)
	v_add_f32_e32 v13, v32, v37
	v_mul_f32_e32 v31, 0xbf737871, v7
	s_delay_alu instid0(VALU_DEP_3) | instskip(SKIP_1) | instid1(VALU_DEP_3)
	v_mul_f32_e32 v21, 0xbf737871, v27
	v_mul_f32_e32 v27, 0x3e9e377a, v27
	v_fmac_f32_e32 v31, 0xbe9e377a, v24
	s_delay_alu instid0(VALU_DEP_1) | instskip(SKIP_1) | instid1(VALU_DEP_2)
	v_dual_fmac_f32 v21, 0x3e9e377a, v29 :: v_dual_sub_f32 v20, v30, v31
	v_mul_f32_e32 v36, 0xbe9e377a, v7
	v_add_f32_e32 v8, v22, v21
	v_fmac_f32_e32 v27, 0x3f737871, v29
	v_add_f32_e32 v5, v26, v33
	s_delay_alu instid0(VALU_DEP_4) | instskip(SKIP_1) | instid1(VALU_DEP_4)
	v_dual_add_f32 v7, v28, v35 :: v_dual_fmac_f32 v36, 0x3f737871, v24
	v_add_f32_e32 v10, v30, v31
	v_add_f32_e32 v9, v25, v27
	v_sub_f32_e32 v15, v26, v33
	s_delay_alu instid0(VALU_DEP_4)
	v_dual_sub_f32 v18, v22, v21 :: v_dual_add_f32 v11, v23, v36
	v_dual_sub_f32 v22, v17, v34 :: v_dual_sub_f32 v17, v28, v35
	v_sub_f32_e32 v19, v25, v27
	v_sub_f32_e32 v21, v23, v36
	v_sub_f32_e32 v23, v32, v37
	ds_store_2addr_b64 v85, v[4:5], v[6:7] offset1:170
	ds_store_2addr_b64 v2, v[8:9], v[10:11] offset0:84 offset1:254
	ds_store_2addr_b64 v1, v[12:13], v[14:15] offset0:40 offset1:210
	;; [unrolled: 1-line block ×4, first 2 shown]
	global_wb scope:SCOPE_SE
	s_wait_dscnt 0x0
	s_barrier_signal -1
	s_barrier_wait -1
	global_inv scope:SCOPE_SE
	s_and_b32 exec_lo, exec_lo, vcc_lo
	s_cbranch_execz .LBB0_15
; %bb.14:
	global_load_b64 v[3:4], v85, s[8:9]
	ds_load_b64 v[5:6], v85
	v_mad_co_u64_u32 v[9:10], null, s0, v86, 0
	s_mov_b32 s4, 0xace01346
	s_mov_b32 s5, 0x3f434679
	s_wait_loadcnt_dscnt 0x0
	v_mul_f32_e32 v7, v6, v4
	v_mul_f32_e32 v4, v5, v4
	s_delay_alu instid0(VALU_DEP_2) | instskip(NEXT) | instid1(VALU_DEP_2)
	v_fmac_f32_e32 v7, v5, v3
	v_fma_f32 v5, v3, v6, -v4
	s_delay_alu instid0(VALU_DEP_2) | instskip(NEXT) | instid1(VALU_DEP_2)
	v_cvt_f64_f32_e32 v[3:4], v7
	v_cvt_f64_f32_e32 v[5:6], v5
	v_mad_co_u64_u32 v[7:8], null, s2, v64, 0
	s_wait_alu 0xfffe
	s_delay_alu instid0(VALU_DEP_3) | instskip(NEXT) | instid1(VALU_DEP_3)
	v_mul_f64_e32 v[3:4], s[4:5], v[3:4]
	v_mul_f64_e32 v[5:6], s[4:5], v[5:6]
	s_delay_alu instid0(VALU_DEP_2) | instskip(NEXT) | instid1(VALU_DEP_2)
	v_cvt_f32_f64_e32 v3, v[3:4]
	v_cvt_f32_f64_e32 v4, v[5:6]
	v_dual_mov_b32 v6, v10 :: v_dual_mov_b32 v5, v8
	s_delay_alu instid0(VALU_DEP_1) | instskip(SKIP_2) | instid1(VALU_DEP_2)
	v_mad_co_u64_u32 v[10:11], null, s3, v64, v[5:6]
	v_mad_co_u64_u32 v[5:6], null, s1, v86, v[6:7]
	s_mul_u64 s[0:1], s[0:1], 0x320
	v_mov_b32_e32 v8, v10
	s_delay_alu instid0(VALU_DEP_2) | instskip(NEXT) | instid1(VALU_DEP_2)
	v_mov_b32_e32 v10, v5
	v_lshlrev_b64_e32 v[5:6], 3, v[7:8]
	s_delay_alu instid0(VALU_DEP_2) | instskip(NEXT) | instid1(VALU_DEP_2)
	v_lshlrev_b64_e32 v[7:8], 3, v[9:10]
	v_add_co_u32 v5, vcc_lo, s12, v5
	s_delay_alu instid0(VALU_DEP_3) | instskip(NEXT) | instid1(VALU_DEP_2)
	v_add_co_ci_u32_e32 v6, vcc_lo, s13, v6, vcc_lo
	v_add_co_u32 v7, vcc_lo, v5, v7
	s_wait_alu 0xfffd
	s_delay_alu instid0(VALU_DEP_2)
	v_add_co_ci_u32_e32 v8, vcc_lo, v6, v8, vcc_lo
	global_store_b64 v[7:8], v[3:4], off
	global_load_b64 v[9:10], v85, s[8:9] offset:800
	ds_load_2addr_b64 v[3:6], v85 offset0:100 offset1:200
	s_wait_alu 0xfffe
	v_add_co_u32 v7, vcc_lo, v7, s0
	s_wait_alu 0xfffd
	v_add_co_ci_u32_e32 v8, vcc_lo, s1, v8, vcc_lo
	s_wait_loadcnt_dscnt 0x0
	v_mul_f32_e32 v11, v4, v10
	v_mul_f32_e32 v10, v3, v10
	s_delay_alu instid0(VALU_DEP_2) | instskip(NEXT) | instid1(VALU_DEP_2)
	v_fmac_f32_e32 v11, v3, v9
	v_fma_f32 v9, v9, v4, -v10
	s_delay_alu instid0(VALU_DEP_2) | instskip(NEXT) | instid1(VALU_DEP_2)
	v_cvt_f64_f32_e32 v[3:4], v11
	v_cvt_f64_f32_e32 v[9:10], v9
	s_delay_alu instid0(VALU_DEP_2) | instskip(NEXT) | instid1(VALU_DEP_2)
	v_mul_f64_e32 v[3:4], s[4:5], v[3:4]
	v_mul_f64_e32 v[9:10], s[4:5], v[9:10]
	s_delay_alu instid0(VALU_DEP_2) | instskip(NEXT) | instid1(VALU_DEP_2)
	v_cvt_f32_f64_e32 v3, v[3:4]
	v_cvt_f32_f64_e32 v4, v[9:10]
	global_store_b64 v[7:8], v[3:4], off
	global_load_b64 v[3:4], v85, s[8:9] offset:1600
	s_wait_loadcnt 0x0
	v_mul_f32_e32 v9, v6, v4
	v_mul_f32_e32 v4, v5, v4
	s_delay_alu instid0(VALU_DEP_2) | instskip(NEXT) | instid1(VALU_DEP_2)
	v_fmac_f32_e32 v9, v5, v3
	v_fma_f32 v5, v3, v6, -v4
	s_delay_alu instid0(VALU_DEP_2) | instskip(NEXT) | instid1(VALU_DEP_2)
	v_cvt_f64_f32_e32 v[3:4], v9
	v_cvt_f64_f32_e32 v[5:6], v5
	s_delay_alu instid0(VALU_DEP_2) | instskip(NEXT) | instid1(VALU_DEP_2)
	v_mul_f64_e32 v[3:4], s[4:5], v[3:4]
	v_mul_f64_e32 v[5:6], s[4:5], v[5:6]
	s_delay_alu instid0(VALU_DEP_2) | instskip(NEXT) | instid1(VALU_DEP_2)
	v_cvt_f32_f64_e32 v3, v[3:4]
	v_cvt_f32_f64_e32 v4, v[5:6]
	v_add_co_u32 v6, vcc_lo, v7, s0
	s_wait_alu 0xfffd
	v_add_co_ci_u32_e32 v7, vcc_lo, s1, v8, vcc_lo
	global_store_b64 v[6:7], v[3:4], off
	global_load_b64 v[8:9], v85, s[8:9] offset:2400
	ds_load_2addr_b64 v[2:5], v2 offset0:44 offset1:144
	v_add_co_u32 v6, vcc_lo, v6, s0
	s_wait_alu 0xfffd
	v_add_co_ci_u32_e32 v7, vcc_lo, s1, v7, vcc_lo
	s_wait_loadcnt_dscnt 0x0
	v_mul_f32_e32 v10, v3, v9
	v_mul_f32_e32 v9, v2, v9
	s_delay_alu instid0(VALU_DEP_2) | instskip(NEXT) | instid1(VALU_DEP_2)
	v_fmac_f32_e32 v10, v2, v8
	v_fma_f32 v8, v8, v3, -v9
	s_delay_alu instid0(VALU_DEP_2) | instskip(NEXT) | instid1(VALU_DEP_2)
	v_cvt_f64_f32_e32 v[2:3], v10
	v_cvt_f64_f32_e32 v[8:9], v8
	s_delay_alu instid0(VALU_DEP_2) | instskip(NEXT) | instid1(VALU_DEP_2)
	v_mul_f64_e32 v[2:3], s[4:5], v[2:3]
	v_mul_f64_e32 v[8:9], s[4:5], v[8:9]
	s_delay_alu instid0(VALU_DEP_2) | instskip(NEXT) | instid1(VALU_DEP_2)
	v_cvt_f32_f64_e32 v2, v[2:3]
	v_cvt_f32_f64_e32 v3, v[8:9]
	global_store_b64 v[6:7], v[2:3], off
	global_load_b64 v[2:3], v85, s[8:9] offset:3200
	v_add_co_u32 v6, vcc_lo, v6, s0
	s_wait_alu 0xfffd
	v_add_co_ci_u32_e32 v7, vcc_lo, s1, v7, vcc_lo
	s_wait_loadcnt 0x0
	v_mul_f32_e32 v8, v5, v3
	v_mul_f32_e32 v3, v4, v3
	s_delay_alu instid0(VALU_DEP_2) | instskip(NEXT) | instid1(VALU_DEP_2)
	v_fmac_f32_e32 v8, v4, v2
	v_fma_f32 v4, v2, v5, -v3
	s_delay_alu instid0(VALU_DEP_2) | instskip(NEXT) | instid1(VALU_DEP_2)
	v_cvt_f64_f32_e32 v[2:3], v8
	v_cvt_f64_f32_e32 v[4:5], v4
	s_delay_alu instid0(VALU_DEP_2) | instskip(NEXT) | instid1(VALU_DEP_2)
	v_mul_f64_e32 v[2:3], s[4:5], v[2:3]
	v_mul_f64_e32 v[4:5], s[4:5], v[4:5]
	s_delay_alu instid0(VALU_DEP_2) | instskip(NEXT) | instid1(VALU_DEP_2)
	v_cvt_f32_f64_e32 v2, v[2:3]
	v_cvt_f32_f64_e32 v3, v[4:5]
	global_store_b64 v[6:7], v[2:3], off
	global_load_b64 v[8:9], v85, s[8:9] offset:4000
	v_add_nc_u32_e32 v2, 0xc00, v85
	v_add_co_u32 v6, vcc_lo, v6, s0
	s_wait_alu 0xfffd
	v_add_co_ci_u32_e32 v7, vcc_lo, s1, v7, vcc_lo
	ds_load_2addr_b64 v[2:5], v2 offset0:116 offset1:216
	s_wait_loadcnt_dscnt 0x0
	v_mul_f32_e32 v10, v3, v9
	v_mul_f32_e32 v9, v2, v9
	s_delay_alu instid0(VALU_DEP_2) | instskip(NEXT) | instid1(VALU_DEP_2)
	v_fmac_f32_e32 v10, v2, v8
	v_fma_f32 v8, v8, v3, -v9
	s_delay_alu instid0(VALU_DEP_2) | instskip(NEXT) | instid1(VALU_DEP_2)
	v_cvt_f64_f32_e32 v[2:3], v10
	v_cvt_f64_f32_e32 v[8:9], v8
	s_delay_alu instid0(VALU_DEP_2) | instskip(NEXT) | instid1(VALU_DEP_2)
	v_mul_f64_e32 v[2:3], s[4:5], v[2:3]
	v_mul_f64_e32 v[8:9], s[4:5], v[8:9]
	s_delay_alu instid0(VALU_DEP_2) | instskip(NEXT) | instid1(VALU_DEP_2)
	v_cvt_f32_f64_e32 v2, v[2:3]
	v_cvt_f32_f64_e32 v3, v[8:9]
	global_store_b64 v[6:7], v[2:3], off
	global_load_b64 v[2:3], v85, s[8:9] offset:4800
	s_wait_loadcnt 0x0
	v_mul_f32_e32 v8, v5, v3
	v_mul_f32_e32 v3, v4, v3
	s_delay_alu instid0(VALU_DEP_2) | instskip(NEXT) | instid1(VALU_DEP_2)
	v_fmac_f32_e32 v8, v4, v2
	v_fma_f32 v4, v2, v5, -v3
	s_delay_alu instid0(VALU_DEP_2) | instskip(NEXT) | instid1(VALU_DEP_2)
	v_cvt_f64_f32_e32 v[2:3], v8
	v_cvt_f64_f32_e32 v[4:5], v4
	s_delay_alu instid0(VALU_DEP_2) | instskip(NEXT) | instid1(VALU_DEP_2)
	v_mul_f64_e32 v[2:3], s[4:5], v[2:3]
	v_mul_f64_e32 v[4:5], s[4:5], v[4:5]
	s_delay_alu instid0(VALU_DEP_2) | instskip(NEXT) | instid1(VALU_DEP_2)
	v_cvt_f32_f64_e32 v2, v[2:3]
	v_cvt_f32_f64_e32 v3, v[4:5]
	v_add_co_u32 v5, vcc_lo, v6, s0
	s_wait_alu 0xfffd
	v_add_co_ci_u32_e32 v6, vcc_lo, s1, v7, vcc_lo
	global_store_b64 v[5:6], v[2:3], off
	global_load_b64 v[7:8], v85, s[8:9] offset:5600
	ds_load_2addr_b64 v[1:4], v1 offset0:60 offset1:160
	v_add_co_u32 v5, vcc_lo, v5, s0
	s_wait_alu 0xfffd
	v_add_co_ci_u32_e32 v6, vcc_lo, s1, v6, vcc_lo
	s_wait_loadcnt_dscnt 0x0
	v_mul_f32_e32 v9, v2, v8
	v_mul_f32_e32 v8, v1, v8
	s_delay_alu instid0(VALU_DEP_2) | instskip(NEXT) | instid1(VALU_DEP_2)
	v_fmac_f32_e32 v9, v1, v7
	v_fma_f32 v7, v7, v2, -v8
	s_delay_alu instid0(VALU_DEP_2) | instskip(NEXT) | instid1(VALU_DEP_2)
	v_cvt_f64_f32_e32 v[1:2], v9
	v_cvt_f64_f32_e32 v[7:8], v7
	s_delay_alu instid0(VALU_DEP_2) | instskip(NEXT) | instid1(VALU_DEP_2)
	v_mul_f64_e32 v[1:2], s[4:5], v[1:2]
	v_mul_f64_e32 v[7:8], s[4:5], v[7:8]
	s_delay_alu instid0(VALU_DEP_2) | instskip(NEXT) | instid1(VALU_DEP_2)
	v_cvt_f32_f64_e32 v1, v[1:2]
	v_cvt_f32_f64_e32 v2, v[7:8]
	global_store_b64 v[5:6], v[1:2], off
	global_load_b64 v[1:2], v85, s[8:9] offset:6400
	v_add_co_u32 v5, vcc_lo, v5, s0
	s_wait_alu 0xfffd
	v_add_co_ci_u32_e32 v6, vcc_lo, s1, v6, vcc_lo
	s_wait_loadcnt 0x0
	v_mul_f32_e32 v7, v4, v2
	v_mul_f32_e32 v2, v3, v2
	s_delay_alu instid0(VALU_DEP_2) | instskip(NEXT) | instid1(VALU_DEP_2)
	v_fmac_f32_e32 v7, v3, v1
	v_fma_f32 v3, v1, v4, -v2
	s_delay_alu instid0(VALU_DEP_2) | instskip(NEXT) | instid1(VALU_DEP_2)
	v_cvt_f64_f32_e32 v[1:2], v7
	v_cvt_f64_f32_e32 v[3:4], v3
	s_delay_alu instid0(VALU_DEP_2) | instskip(NEXT) | instid1(VALU_DEP_2)
	v_mul_f64_e32 v[1:2], s[4:5], v[1:2]
	v_mul_f64_e32 v[3:4], s[4:5], v[3:4]
	s_delay_alu instid0(VALU_DEP_2) | instskip(NEXT) | instid1(VALU_DEP_2)
	v_cvt_f32_f64_e32 v1, v[1:2]
	v_cvt_f32_f64_e32 v2, v[3:4]
	global_store_b64 v[5:6], v[1:2], off
	global_load_b64 v[7:8], v85, s[8:9] offset:7200
	v_add_nc_u32_e32 v1, 0x1800, v85
	v_add_co_u32 v5, vcc_lo, v5, s0
	s_wait_alu 0xfffd
	v_add_co_ci_u32_e32 v6, vcc_lo, s1, v6, vcc_lo
	ds_load_2addr_b64 v[1:4], v1 offset0:132 offset1:232
	s_wait_loadcnt_dscnt 0x0
	v_mul_f32_e32 v9, v2, v8
	v_mul_f32_e32 v8, v1, v8
	s_delay_alu instid0(VALU_DEP_2) | instskip(NEXT) | instid1(VALU_DEP_2)
	v_fmac_f32_e32 v9, v1, v7
	v_fma_f32 v7, v7, v2, -v8
	s_delay_alu instid0(VALU_DEP_2) | instskip(NEXT) | instid1(VALU_DEP_2)
	v_cvt_f64_f32_e32 v[1:2], v9
	v_cvt_f64_f32_e32 v[7:8], v7
	s_delay_alu instid0(VALU_DEP_2) | instskip(NEXT) | instid1(VALU_DEP_2)
	v_mul_f64_e32 v[1:2], s[4:5], v[1:2]
	v_mul_f64_e32 v[7:8], s[4:5], v[7:8]
	s_delay_alu instid0(VALU_DEP_2) | instskip(NEXT) | instid1(VALU_DEP_2)
	v_cvt_f32_f64_e32 v1, v[1:2]
	v_cvt_f32_f64_e32 v2, v[7:8]
	global_store_b64 v[5:6], v[1:2], off
	global_load_b64 v[1:2], v85, s[8:9] offset:8000
	v_add_co_u32 v5, vcc_lo, v5, s0
	s_wait_alu 0xfffd
	v_add_co_ci_u32_e32 v6, vcc_lo, s1, v6, vcc_lo
	s_wait_loadcnt 0x0
	v_mul_f32_e32 v7, v4, v2
	v_mul_f32_e32 v2, v3, v2
	s_delay_alu instid0(VALU_DEP_2) | instskip(NEXT) | instid1(VALU_DEP_2)
	v_fmac_f32_e32 v7, v3, v1
	v_fma_f32 v3, v1, v4, -v2
	s_delay_alu instid0(VALU_DEP_2) | instskip(NEXT) | instid1(VALU_DEP_2)
	v_cvt_f64_f32_e32 v[1:2], v7
	v_cvt_f64_f32_e32 v[3:4], v3
	s_delay_alu instid0(VALU_DEP_2) | instskip(NEXT) | instid1(VALU_DEP_2)
	v_mul_f64_e32 v[1:2], s[4:5], v[1:2]
	v_mul_f64_e32 v[3:4], s[4:5], v[3:4]
	s_delay_alu instid0(VALU_DEP_2) | instskip(NEXT) | instid1(VALU_DEP_2)
	v_cvt_f32_f64_e32 v1, v[1:2]
	v_cvt_f32_f64_e32 v2, v[3:4]
	global_store_b64 v[5:6], v[1:2], off
	global_load_b64 v[7:8], v85, s[8:9] offset:8800
	v_add_nc_u32_e32 v1, 0x2000, v85
	v_add_co_u32 v5, vcc_lo, v5, s0
	s_wait_alu 0xfffd
	v_add_co_ci_u32_e32 v6, vcc_lo, s1, v6, vcc_lo
	ds_load_2addr_b64 v[1:4], v1 offset0:76 offset1:176
	s_wait_loadcnt_dscnt 0x0
	v_mul_f32_e32 v9, v2, v8
	v_mul_f32_e32 v8, v1, v8
	s_delay_alu instid0(VALU_DEP_2) | instskip(NEXT) | instid1(VALU_DEP_2)
	v_fmac_f32_e32 v9, v1, v7
	v_fma_f32 v7, v7, v2, -v8
	s_delay_alu instid0(VALU_DEP_2) | instskip(NEXT) | instid1(VALU_DEP_2)
	v_cvt_f64_f32_e32 v[1:2], v9
	v_cvt_f64_f32_e32 v[7:8], v7
	s_delay_alu instid0(VALU_DEP_2) | instskip(NEXT) | instid1(VALU_DEP_2)
	v_mul_f64_e32 v[1:2], s[4:5], v[1:2]
	v_mul_f64_e32 v[7:8], s[4:5], v[7:8]
	s_delay_alu instid0(VALU_DEP_2) | instskip(NEXT) | instid1(VALU_DEP_2)
	v_cvt_f32_f64_e32 v1, v[1:2]
	v_cvt_f32_f64_e32 v2, v[7:8]
	global_store_b64 v[5:6], v[1:2], off
	global_load_b64 v[1:2], v85, s[8:9] offset:9600
	s_wait_loadcnt 0x0
	v_mul_f32_e32 v7, v4, v2
	v_mul_f32_e32 v2, v3, v2
	s_delay_alu instid0(VALU_DEP_2) | instskip(NEXT) | instid1(VALU_DEP_2)
	v_fmac_f32_e32 v7, v3, v1
	v_fma_f32 v3, v1, v4, -v2
	s_delay_alu instid0(VALU_DEP_2) | instskip(NEXT) | instid1(VALU_DEP_2)
	v_cvt_f64_f32_e32 v[1:2], v7
	v_cvt_f64_f32_e32 v[3:4], v3
	s_delay_alu instid0(VALU_DEP_2) | instskip(NEXT) | instid1(VALU_DEP_2)
	v_mul_f64_e32 v[1:2], s[4:5], v[1:2]
	v_mul_f64_e32 v[3:4], s[4:5], v[3:4]
	s_delay_alu instid0(VALU_DEP_2) | instskip(NEXT) | instid1(VALU_DEP_2)
	v_cvt_f32_f64_e32 v1, v[1:2]
	v_cvt_f32_f64_e32 v2, v[3:4]
	v_add_co_u32 v4, vcc_lo, v5, s0
	s_wait_alu 0xfffd
	v_add_co_ci_u32_e32 v5, vcc_lo, s1, v6, vcc_lo
	global_store_b64 v[4:5], v[1:2], off
	global_load_b64 v[6:7], v85, s[8:9] offset:10400
	ds_load_2addr_b64 v[0:3], v0 offset0:20 offset1:120
	v_add_co_u32 v4, vcc_lo, v4, s0
	s_wait_alu 0xfffd
	v_add_co_ci_u32_e32 v5, vcc_lo, s1, v5, vcc_lo
	s_wait_loadcnt_dscnt 0x0
	v_mul_f32_e32 v8, v1, v7
	v_mul_f32_e32 v7, v0, v7
	s_delay_alu instid0(VALU_DEP_2) | instskip(NEXT) | instid1(VALU_DEP_2)
	v_fmac_f32_e32 v8, v0, v6
	v_fma_f32 v6, v6, v1, -v7
	s_delay_alu instid0(VALU_DEP_2) | instskip(NEXT) | instid1(VALU_DEP_2)
	v_cvt_f64_f32_e32 v[0:1], v8
	v_cvt_f64_f32_e32 v[6:7], v6
	s_delay_alu instid0(VALU_DEP_2) | instskip(NEXT) | instid1(VALU_DEP_2)
	v_mul_f64_e32 v[0:1], s[4:5], v[0:1]
	v_mul_f64_e32 v[6:7], s[4:5], v[6:7]
	s_delay_alu instid0(VALU_DEP_2) | instskip(NEXT) | instid1(VALU_DEP_2)
	v_cvt_f32_f64_e32 v0, v[0:1]
	v_cvt_f32_f64_e32 v1, v[6:7]
	global_store_b64 v[4:5], v[0:1], off
	global_load_b64 v[0:1], v85, s[8:9] offset:11200
	v_add_co_u32 v4, vcc_lo, v4, s0
	s_wait_alu 0xfffd
	v_add_co_ci_u32_e32 v5, vcc_lo, s1, v5, vcc_lo
	s_wait_loadcnt 0x0
	v_mul_f32_e32 v6, v3, v1
	v_mul_f32_e32 v1, v2, v1
	s_delay_alu instid0(VALU_DEP_2) | instskip(NEXT) | instid1(VALU_DEP_2)
	v_fmac_f32_e32 v6, v2, v0
	v_fma_f32 v2, v0, v3, -v1
	s_delay_alu instid0(VALU_DEP_2) | instskip(NEXT) | instid1(VALU_DEP_2)
	v_cvt_f64_f32_e32 v[0:1], v6
	v_cvt_f64_f32_e32 v[2:3], v2
	s_delay_alu instid0(VALU_DEP_2) | instskip(NEXT) | instid1(VALU_DEP_2)
	v_mul_f64_e32 v[0:1], s[4:5], v[0:1]
	v_mul_f64_e32 v[2:3], s[4:5], v[2:3]
	s_delay_alu instid0(VALU_DEP_2) | instskip(NEXT) | instid1(VALU_DEP_2)
	v_cvt_f32_f64_e32 v0, v[0:1]
	v_cvt_f32_f64_e32 v1, v[2:3]
	global_store_b64 v[4:5], v[0:1], off
	global_load_b64 v[6:7], v85, s[8:9] offset:12000
	v_add_nc_u32_e32 v0, 0x2c00, v85
	v_add_co_u32 v4, vcc_lo, v4, s0
	s_wait_alu 0xfffd
	v_add_co_ci_u32_e32 v5, vcc_lo, s1, v5, vcc_lo
	ds_load_2addr_b64 v[0:3], v0 offset0:92 offset1:192
	s_wait_loadcnt_dscnt 0x0
	v_mul_f32_e32 v8, v1, v7
	v_mul_f32_e32 v7, v0, v7
	s_delay_alu instid0(VALU_DEP_2) | instskip(NEXT) | instid1(VALU_DEP_2)
	v_fmac_f32_e32 v8, v0, v6
	v_fma_f32 v6, v6, v1, -v7
	s_delay_alu instid0(VALU_DEP_2) | instskip(NEXT) | instid1(VALU_DEP_2)
	v_cvt_f64_f32_e32 v[0:1], v8
	v_cvt_f64_f32_e32 v[6:7], v6
	s_delay_alu instid0(VALU_DEP_2) | instskip(NEXT) | instid1(VALU_DEP_2)
	v_mul_f64_e32 v[0:1], s[4:5], v[0:1]
	v_mul_f64_e32 v[6:7], s[4:5], v[6:7]
	s_delay_alu instid0(VALU_DEP_2) | instskip(NEXT) | instid1(VALU_DEP_2)
	v_cvt_f32_f64_e32 v0, v[0:1]
	v_cvt_f32_f64_e32 v1, v[6:7]
	global_store_b64 v[4:5], v[0:1], off
	global_load_b64 v[0:1], v85, s[8:9] offset:12800
	s_wait_loadcnt 0x0
	v_mul_f32_e32 v6, v3, v1
	v_mul_f32_e32 v1, v2, v1
	s_delay_alu instid0(VALU_DEP_2) | instskip(NEXT) | instid1(VALU_DEP_2)
	v_fmac_f32_e32 v6, v2, v0
	v_fma_f32 v2, v0, v3, -v1
	s_delay_alu instid0(VALU_DEP_2) | instskip(NEXT) | instid1(VALU_DEP_2)
	v_cvt_f64_f32_e32 v[0:1], v6
	v_cvt_f64_f32_e32 v[2:3], v2
	s_delay_alu instid0(VALU_DEP_2) | instskip(NEXT) | instid1(VALU_DEP_2)
	v_mul_f64_e32 v[0:1], s[4:5], v[0:1]
	v_mul_f64_e32 v[2:3], s[4:5], v[2:3]
	s_delay_alu instid0(VALU_DEP_2) | instskip(NEXT) | instid1(VALU_DEP_2)
	v_cvt_f32_f64_e32 v0, v[0:1]
	v_cvt_f32_f64_e32 v1, v[2:3]
	v_add_co_u32 v2, vcc_lo, v4, s0
	s_wait_alu 0xfffd
	v_add_co_ci_u32_e32 v3, vcc_lo, s1, v5, vcc_lo
	global_store_b64 v[2:3], v[0:1], off
.LBB0_15:
	s_nop 0
	s_sendmsg sendmsg(MSG_DEALLOC_VGPRS)
	s_endpgm
	.section	.rodata,"a",@progbits
	.p2align	6, 0x0
	.amdhsa_kernel bluestein_single_fwd_len1700_dim1_sp_op_CI_CI
		.amdhsa_group_segment_fixed_size 13600
		.amdhsa_private_segment_fixed_size 0
		.amdhsa_kernarg_size 104
		.amdhsa_user_sgpr_count 2
		.amdhsa_user_sgpr_dispatch_ptr 0
		.amdhsa_user_sgpr_queue_ptr 0
		.amdhsa_user_sgpr_kernarg_segment_ptr 1
		.amdhsa_user_sgpr_dispatch_id 0
		.amdhsa_user_sgpr_private_segment_size 0
		.amdhsa_wavefront_size32 1
		.amdhsa_uses_dynamic_stack 0
		.amdhsa_enable_private_segment 0
		.amdhsa_system_sgpr_workgroup_id_x 1
		.amdhsa_system_sgpr_workgroup_id_y 0
		.amdhsa_system_sgpr_workgroup_id_z 0
		.amdhsa_system_sgpr_workgroup_info 0
		.amdhsa_system_vgpr_workitem_id 0
		.amdhsa_next_free_vgpr 236
		.amdhsa_next_free_sgpr 14
		.amdhsa_reserve_vcc 1
		.amdhsa_float_round_mode_32 0
		.amdhsa_float_round_mode_16_64 0
		.amdhsa_float_denorm_mode_32 3
		.amdhsa_float_denorm_mode_16_64 3
		.amdhsa_fp16_overflow 0
		.amdhsa_workgroup_processor_mode 1
		.amdhsa_memory_ordered 1
		.amdhsa_forward_progress 0
		.amdhsa_round_robin_scheduling 0
		.amdhsa_exception_fp_ieee_invalid_op 0
		.amdhsa_exception_fp_denorm_src 0
		.amdhsa_exception_fp_ieee_div_zero 0
		.amdhsa_exception_fp_ieee_overflow 0
		.amdhsa_exception_fp_ieee_underflow 0
		.amdhsa_exception_fp_ieee_inexact 0
		.amdhsa_exception_int_div_zero 0
	.end_amdhsa_kernel
	.text
.Lfunc_end0:
	.size	bluestein_single_fwd_len1700_dim1_sp_op_CI_CI, .Lfunc_end0-bluestein_single_fwd_len1700_dim1_sp_op_CI_CI
                                        ; -- End function
	.section	.AMDGPU.csdata,"",@progbits
; Kernel info:
; codeLenInByte = 20876
; NumSgprs: 16
; NumVgprs: 236
; ScratchSize: 0
; MemoryBound: 0
; FloatMode: 240
; IeeeMode: 1
; LDSByteSize: 13600 bytes/workgroup (compile time only)
; SGPRBlocks: 1
; VGPRBlocks: 29
; NumSGPRsForWavesPerEU: 16
; NumVGPRsForWavesPerEU: 236
; Occupancy: 6
; WaveLimiterHint : 1
; COMPUTE_PGM_RSRC2:SCRATCH_EN: 0
; COMPUTE_PGM_RSRC2:USER_SGPR: 2
; COMPUTE_PGM_RSRC2:TRAP_HANDLER: 0
; COMPUTE_PGM_RSRC2:TGID_X_EN: 1
; COMPUTE_PGM_RSRC2:TGID_Y_EN: 0
; COMPUTE_PGM_RSRC2:TGID_Z_EN: 0
; COMPUTE_PGM_RSRC2:TIDIG_COMP_CNT: 0
	.text
	.p2alignl 7, 3214868480
	.fill 96, 4, 3214868480
	.type	__hip_cuid_2fdefe1d4786cb09,@object ; @__hip_cuid_2fdefe1d4786cb09
	.section	.bss,"aw",@nobits
	.globl	__hip_cuid_2fdefe1d4786cb09
__hip_cuid_2fdefe1d4786cb09:
	.byte	0                               ; 0x0
	.size	__hip_cuid_2fdefe1d4786cb09, 1

	.ident	"AMD clang version 19.0.0git (https://github.com/RadeonOpenCompute/llvm-project roc-6.4.0 25133 c7fe45cf4b819c5991fe208aaa96edf142730f1d)"
	.section	".note.GNU-stack","",@progbits
	.addrsig
	.addrsig_sym __hip_cuid_2fdefe1d4786cb09
	.amdgpu_metadata
---
amdhsa.kernels:
  - .args:
      - .actual_access:  read_only
        .address_space:  global
        .offset:         0
        .size:           8
        .value_kind:     global_buffer
      - .actual_access:  read_only
        .address_space:  global
        .offset:         8
        .size:           8
        .value_kind:     global_buffer
      - .actual_access:  read_only
        .address_space:  global
        .offset:         16
        .size:           8
        .value_kind:     global_buffer
      - .actual_access:  read_only
        .address_space:  global
        .offset:         24
        .size:           8
        .value_kind:     global_buffer
      - .actual_access:  read_only
        .address_space:  global
        .offset:         32
        .size:           8
        .value_kind:     global_buffer
      - .offset:         40
        .size:           8
        .value_kind:     by_value
      - .address_space:  global
        .offset:         48
        .size:           8
        .value_kind:     global_buffer
      - .address_space:  global
        .offset:         56
        .size:           8
        .value_kind:     global_buffer
      - .address_space:  global
        .offset:         64
        .size:           8
        .value_kind:     global_buffer
      - .address_space:  global
        .offset:         72
        .size:           8
        .value_kind:     global_buffer
      - .offset:         80
        .size:           4
        .value_kind:     by_value
      - .address_space:  global
        .offset:         88
        .size:           8
        .value_kind:     global_buffer
      - .address_space:  global
        .offset:         96
        .size:           8
        .value_kind:     global_buffer
    .group_segment_fixed_size: 13600
    .kernarg_segment_align: 8
    .kernarg_segment_size: 104
    .language:       OpenCL C
    .language_version:
      - 2
      - 0
    .max_flat_workgroup_size: 170
    .name:           bluestein_single_fwd_len1700_dim1_sp_op_CI_CI
    .private_segment_fixed_size: 0
    .sgpr_count:     16
    .sgpr_spill_count: 0
    .symbol:         bluestein_single_fwd_len1700_dim1_sp_op_CI_CI.kd
    .uniform_work_group_size: 1
    .uses_dynamic_stack: false
    .vgpr_count:     236
    .vgpr_spill_count: 0
    .wavefront_size: 32
    .workgroup_processor_mode: 1
amdhsa.target:   amdgcn-amd-amdhsa--gfx1201
amdhsa.version:
  - 1
  - 2
...

	.end_amdgpu_metadata
